;; amdgpu-corpus repo=ROCm/MIOpen kind=compiled arch=gfx906 opt=O3
	.amdgcn_target "amdgcn-amd-amdhsa--gfx906"
	.amdhsa_code_object_version 6
	.text
	.protected	SoftMarginLossForward5d ; -- Begin function SoftMarginLossForward5d
	.globl	SoftMarginLossForward5d
	.p2align	8
	.type	SoftMarginLossForward5d,@function
SoftMarginLossForward5d:                ; @SoftMarginLossForward5d
; %bb.0:
	s_load_dword s0, s[4:5], 0x11c
	s_load_dwordx2 s[34:35], s[4:5], 0x90
	s_load_dwordx4 s[36:39], s[4:5], 0x80
	s_load_dwordx8 s[24:31], s[4:5], 0x60
	s_waitcnt lgkmcnt(0)
	s_and_b32 s0, s0, 0xffff
	s_mul_i32 s6, s6, s0
	s_mov_b32 s0, 0
	s_mov_b32 s1, s27
	s_cmp_lg_u64 s[0:1], 0
	v_add_u32_e32 v8, s6, v0
	s_cselect_b64 s[0:1], -1, 0
                                        ; implicit-def: $vgpr0_vgpr1
	s_and_saveexec_b64 s[2:3], s[0:1]
	s_xor_b64 s[2:3], exec, s[2:3]
	s_cbranch_execz .LBB0_2
; %bb.1:
	v_cvt_f32_u32_e32 v0, s26
	v_cvt_f32_u32_e32 v1, s27
	s_sub_u32 s6, 0, s26
	s_subb_u32 s7, 0, s27
	v_mov_b32_e32 v4, s27
	v_madmk_f32 v0, v1, 0x4f800000, v0
	v_rcp_f32_e32 v0, v0
	v_mul_f32_e32 v0, 0x5f7ffffc, v0
	v_mul_f32_e32 v1, 0x2f800000, v0
	v_trunc_f32_e32 v1, v1
	v_madmk_f32 v0, v1, 0xcf800000, v0
	v_cvt_u32_f32_e32 v1, v1
	v_cvt_u32_f32_e32 v0, v0
	v_readfirstlane_b32 s8, v1
	v_readfirstlane_b32 s0, v0
	s_mul_i32 s1, s6, s8
	s_mul_hi_u32 s10, s6, s0
	s_mul_i32 s9, s7, s0
	s_add_i32 s1, s10, s1
	s_mul_i32 s11, s6, s0
	s_add_i32 s1, s1, s9
	s_mul_i32 s10, s0, s1
	s_mul_hi_u32 s12, s0, s11
	s_mul_hi_u32 s9, s0, s1
	s_add_u32 s10, s12, s10
	s_addc_u32 s9, 0, s9
	s_mul_hi_u32 s13, s8, s11
	s_mul_i32 s11, s8, s11
	s_add_u32 s10, s10, s11
	s_mul_hi_u32 s12, s8, s1
	s_addc_u32 s9, s9, s13
	s_addc_u32 s10, s12, 0
	s_mul_i32 s1, s8, s1
	s_add_u32 s1, s9, s1
	s_addc_u32 s9, 0, s10
	s_add_u32 s10, s0, s1
	s_cselect_b64 s[0:1], -1, 0
	s_cmp_lg_u64 s[0:1], 0
	s_addc_u32 s8, s8, s9
	s_mul_i32 s0, s6, s8
	s_mul_hi_u32 s1, s6, s10
	s_add_i32 s0, s1, s0
	s_mul_i32 s7, s7, s10
	s_add_i32 s0, s0, s7
	s_mul_i32 s6, s6, s10
	s_mul_hi_u32 s7, s8, s6
	s_mul_i32 s9, s8, s6
	s_mul_i32 s12, s10, s0
	s_mul_hi_u32 s6, s10, s6
	s_mul_hi_u32 s11, s10, s0
	s_add_u32 s6, s6, s12
	s_addc_u32 s11, 0, s11
	s_add_u32 s6, s6, s9
	s_mul_hi_u32 s1, s8, s0
	s_addc_u32 s6, s11, s7
	s_addc_u32 s1, s1, 0
	s_mul_i32 s0, s8, s0
	s_add_u32 s0, s6, s0
	s_addc_u32 s6, 0, s1
	s_add_u32 s7, s10, s0
	s_cselect_b64 s[0:1], -1, 0
	s_cmp_lg_u64 s[0:1], 0
	s_addc_u32 s0, s8, s6
	v_mad_u64_u32 v[0:1], s[0:1], v8, s0, 0
	v_mul_hi_u32 v2, v8, s7
	v_add_co_u32_e32 v0, vcc, v2, v0
	v_addc_co_u32_e32 v3, vcc, 0, v1, vcc
	v_mad_u64_u32 v[0:1], s[0:1], s26, v3, 0
	v_mad_u64_u32 v[1:2], s[0:1], s27, v3, v[1:2]
	v_sub_co_u32_e32 v0, vcc, v8, v0
	v_sub_u32_e32 v2, 0, v1
	v_subb_co_u32_e64 v2, s[0:1], v2, v4, vcc
	v_subrev_co_u32_e64 v4, s[0:1], s26, v0
	v_subbrev_co_u32_e64 v2, s[0:1], 0, v2, s[0:1]
	v_cmp_le_u32_e64 s[0:1], s27, v2
	v_cndmask_b32_e64 v5, 0, -1, s[0:1]
	v_cmp_le_u32_e64 s[0:1], s26, v4
	v_cndmask_b32_e64 v4, 0, -1, s[0:1]
	v_cmp_eq_u32_e64 s[0:1], s27, v2
	v_cndmask_b32_e64 v2, v5, v4, s[0:1]
	v_add_co_u32_e64 v4, s[0:1], 2, v3
	v_addc_co_u32_e64 v5, s[0:1], 0, 0, s[0:1]
	v_add_co_u32_e64 v6, s[0:1], 1, v3
	v_addc_co_u32_e64 v7, s[0:1], 0, 0, s[0:1]
	v_subb_co_u32_e32 v1, vcc, 0, v1, vcc
	v_cmp_ne_u32_e64 s[0:1], 0, v2
	v_cmp_le_u32_e32 vcc, s27, v1
	v_cndmask_b32_e64 v2, v7, v5, s[0:1]
	v_cndmask_b32_e64 v5, 0, -1, vcc
	v_cmp_le_u32_e32 vcc, s26, v0
	v_cndmask_b32_e64 v0, 0, -1, vcc
	v_cmp_eq_u32_e32 vcc, s27, v1
	v_cndmask_b32_e32 v0, v5, v0, vcc
	v_cmp_ne_u32_e32 vcc, 0, v0
	v_cndmask_b32_e64 v0, v6, v4, s[0:1]
	v_cndmask_b32_e32 v1, 0, v2, vcc
	v_cndmask_b32_e32 v0, v3, v0, vcc
.LBB0_2:
	s_andn2_saveexec_b64 s[0:1], s[2:3]
	s_cbranch_execz .LBB0_4
; %bb.3:
	v_cvt_f32_u32_e32 v0, s26
	s_sub_i32 s2, 0, s26
	v_rcp_iflag_f32_e32 v0, v0
	v_mul_f32_e32 v0, 0x4f7ffffe, v0
	v_cvt_u32_f32_e32 v0, v0
	v_mul_lo_u32 v1, s2, v0
	v_mul_hi_u32 v1, v0, v1
	v_add_u32_e32 v0, v0, v1
	v_mul_hi_u32 v0, v8, v0
	v_mul_lo_u32 v1, v0, s26
	v_add_u32_e32 v2, 1, v0
	v_sub_u32_e32 v1, v8, v1
	v_subrev_u32_e32 v3, s26, v1
	v_cmp_le_u32_e32 vcc, s26, v1
	v_cndmask_b32_e32 v1, v1, v3, vcc
	v_cndmask_b32_e32 v0, v0, v2, vcc
	v_add_u32_e32 v2, 1, v0
	v_cmp_le_u32_e32 vcc, s26, v1
	v_cndmask_b32_e32 v0, v0, v2, vcc
	v_mov_b32_e32 v1, 0
.LBB0_4:
	s_or_b64 exec, exec, s[0:1]
	v_or_b32_e32 v3, s25, v1
	v_mov_b32_e32 v2, 0
	v_cmp_ne_u64_e32 vcc, 0, v[2:3]
                                        ; implicit-def: $vgpr2_vgpr3
	s_and_saveexec_b64 s[0:1], vcc
	s_xor_b64 s[2:3], exec, s[0:1]
	s_cbranch_execz .LBB0_6
; %bb.5:
	v_cvt_f32_u32_e32 v2, s24
	v_cvt_f32_u32_e32 v3, s25
	s_sub_u32 s6, 0, s24
	s_subb_u32 s7, 0, s25
	v_madmk_f32 v2, v3, 0x4f800000, v2
	v_rcp_f32_e32 v2, v2
	v_mul_f32_e32 v2, 0x5f7ffffc, v2
	v_mul_f32_e32 v3, 0x2f800000, v2
	v_trunc_f32_e32 v3, v3
	v_madmk_f32 v2, v3, 0xcf800000, v2
	v_cvt_u32_f32_e32 v3, v3
	v_cvt_u32_f32_e32 v2, v2
	v_readfirstlane_b32 s8, v3
	v_readfirstlane_b32 s0, v2
	s_mul_i32 s1, s6, s8
	s_mul_hi_u32 s10, s6, s0
	s_mul_i32 s9, s7, s0
	s_add_i32 s1, s10, s1
	s_mul_i32 s11, s6, s0
	s_add_i32 s1, s1, s9
	s_mul_i32 s10, s0, s1
	s_mul_hi_u32 s12, s0, s11
	s_mul_hi_u32 s9, s0, s1
	s_add_u32 s10, s12, s10
	s_addc_u32 s9, 0, s9
	s_mul_hi_u32 s13, s8, s11
	s_mul_i32 s11, s8, s11
	s_add_u32 s10, s10, s11
	s_mul_hi_u32 s12, s8, s1
	s_addc_u32 s9, s9, s13
	s_addc_u32 s10, s12, 0
	s_mul_i32 s1, s8, s1
	s_add_u32 s1, s9, s1
	s_addc_u32 s9, 0, s10
	s_add_u32 s10, s0, s1
	s_cselect_b64 s[0:1], -1, 0
	s_cmp_lg_u64 s[0:1], 0
	s_addc_u32 s8, s8, s9
	s_mul_i32 s0, s6, s8
	s_mul_hi_u32 s1, s6, s10
	s_add_i32 s0, s1, s0
	s_mul_i32 s7, s7, s10
	s_add_i32 s0, s0, s7
	s_mul_i32 s6, s6, s10
	s_mul_hi_u32 s7, s8, s6
	s_mul_i32 s9, s8, s6
	s_mul_i32 s12, s10, s0
	s_mul_hi_u32 s6, s10, s6
	s_mul_hi_u32 s11, s10, s0
	s_add_u32 s6, s6, s12
	s_addc_u32 s11, 0, s11
	s_add_u32 s6, s6, s9
	s_mul_hi_u32 s1, s8, s0
	s_addc_u32 s6, s11, s7
	s_addc_u32 s1, s1, 0
	s_mul_i32 s0, s8, s0
	s_add_u32 s0, s6, s0
	s_addc_u32 s6, 0, s1
	s_add_u32 s7, s10, s0
	s_cselect_b64 s[0:1], -1, 0
	s_cmp_lg_u64 s[0:1], 0
	s_addc_u32 s6, s8, s6
	v_mad_u64_u32 v[2:3], s[0:1], v0, s6, 0
	v_mul_hi_u32 v4, v0, s7
	v_add_co_u32_e32 v6, vcc, v4, v2
	v_addc_co_u32_e32 v7, vcc, 0, v3, vcc
	v_mad_u64_u32 v[2:3], s[0:1], v1, s7, 0
	v_mad_u64_u32 v[4:5], s[0:1], v1, s6, 0
	v_add_co_u32_e32 v2, vcc, v6, v2
	v_addc_co_u32_e32 v2, vcc, v7, v3, vcc
	v_addc_co_u32_e32 v3, vcc, 0, v5, vcc
	v_add_co_u32_e32 v4, vcc, v2, v4
	v_addc_co_u32_e32 v5, vcc, 0, v3, vcc
	v_mul_lo_u32 v6, s25, v4
	v_mul_lo_u32 v7, s24, v5
	v_mad_u64_u32 v[2:3], s[0:1], s24, v4, 0
	v_add3_u32 v3, v3, v7, v6
	v_sub_u32_e32 v6, v1, v3
	v_mov_b32_e32 v7, s25
	v_sub_co_u32_e32 v2, vcc, v0, v2
	v_subb_co_u32_e64 v6, s[0:1], v6, v7, vcc
	v_subrev_co_u32_e64 v7, s[0:1], s24, v2
	v_subbrev_co_u32_e64 v6, s[0:1], 0, v6, s[0:1]
	v_cmp_le_u32_e64 s[0:1], s25, v6
	v_cndmask_b32_e64 v9, 0, -1, s[0:1]
	v_cmp_le_u32_e64 s[0:1], s24, v7
	v_cndmask_b32_e64 v7, 0, -1, s[0:1]
	v_cmp_eq_u32_e64 s[0:1], s25, v6
	v_cndmask_b32_e64 v6, v9, v7, s[0:1]
	v_add_co_u32_e64 v7, s[0:1], 2, v4
	v_addc_co_u32_e64 v9, s[0:1], 0, v5, s[0:1]
	v_add_co_u32_e64 v10, s[0:1], 1, v4
	v_addc_co_u32_e64 v11, s[0:1], 0, v5, s[0:1]
	v_subb_co_u32_e32 v3, vcc, v1, v3, vcc
	v_cmp_ne_u32_e64 s[0:1], 0, v6
	v_cmp_le_u32_e32 vcc, s25, v3
	v_cndmask_b32_e64 v6, v11, v9, s[0:1]
	v_cndmask_b32_e64 v9, 0, -1, vcc
	v_cmp_le_u32_e32 vcc, s24, v2
	v_cndmask_b32_e64 v2, 0, -1, vcc
	v_cmp_eq_u32_e32 vcc, s25, v3
	v_cndmask_b32_e32 v2, v9, v2, vcc
	v_cmp_ne_u32_e32 vcc, 0, v2
	v_cndmask_b32_e64 v2, v10, v7, s[0:1]
	v_cndmask_b32_e32 v3, v5, v6, vcc
	v_cndmask_b32_e32 v2, v4, v2, vcc
.LBB0_6:
	s_or_saveexec_b64 s[0:1], s[2:3]
	s_load_dwordx16 s[8:23], s[4:5], 0x20
	s_xor_b64 exec, exec, s[0:1]
	s_cbranch_execz .LBB0_8
; %bb.7:
	v_cvt_f32_u32_e32 v2, s24
	s_sub_i32 s2, 0, s24
	v_rcp_iflag_f32_e32 v2, v2
	v_mul_f32_e32 v2, 0x4f7ffffe, v2
	v_cvt_u32_f32_e32 v2, v2
	v_mul_lo_u32 v3, s2, v2
	v_mul_hi_u32 v3, v2, v3
	v_add_u32_e32 v2, v2, v3
	v_mul_hi_u32 v2, v0, v2
	v_mul_lo_u32 v3, v2, s24
	v_add_u32_e32 v4, 1, v2
	v_sub_u32_e32 v3, v0, v3
	v_subrev_u32_e32 v5, s24, v3
	v_cmp_le_u32_e32 vcc, s24, v3
	v_cndmask_b32_e32 v3, v3, v5, vcc
	v_cndmask_b32_e32 v2, v2, v4, vcc
	v_add_u32_e32 v4, 1, v2
	v_cmp_le_u32_e32 vcc, s24, v3
	v_cndmask_b32_e32 v2, v2, v4, vcc
	v_mov_b32_e32 v3, 0
.LBB0_8:
	s_or_b64 exec, exec, s[0:1]
	s_waitcnt lgkmcnt(0)
	v_or_b32_e32 v5, s23, v3
	v_mov_b32_e32 v4, 0
	v_cmp_ne_u64_e32 vcc, 0, v[4:5]
                                        ; implicit-def: $vgpr6_vgpr7
	s_and_saveexec_b64 s[0:1], vcc
	s_xor_b64 s[2:3], exec, s[0:1]
	s_cbranch_execz .LBB0_10
; %bb.9:
	v_cvt_f32_u32_e32 v4, s22
	v_cvt_f32_u32_e32 v5, s23
	s_sub_u32 s6, 0, s22
	s_subb_u32 s7, 0, s23
	v_madmk_f32 v4, v5, 0x4f800000, v4
	v_rcp_f32_e32 v4, v4
	v_mul_f32_e32 v4, 0x5f7ffffc, v4
	v_mul_f32_e32 v5, 0x2f800000, v4
	v_trunc_f32_e32 v5, v5
	v_madmk_f32 v4, v5, 0xcf800000, v4
	v_cvt_u32_f32_e32 v5, v5
	v_cvt_u32_f32_e32 v4, v4
	v_readfirstlane_b32 s33, v5
	v_readfirstlane_b32 s0, v4
	s_mul_i32 s1, s6, s33
	s_mul_hi_u32 s41, s6, s0
	s_mul_i32 s40, s7, s0
	s_add_i32 s1, s41, s1
	s_mul_i32 s42, s6, s0
	s_add_i32 s1, s1, s40
	s_mul_i32 s41, s0, s1
	s_mul_hi_u32 s43, s0, s42
	s_mul_hi_u32 s40, s0, s1
	s_add_u32 s41, s43, s41
	s_addc_u32 s40, 0, s40
	s_mul_hi_u32 s44, s33, s42
	s_mul_i32 s42, s33, s42
	s_add_u32 s41, s41, s42
	s_mul_hi_u32 s43, s33, s1
	s_addc_u32 s40, s40, s44
	s_addc_u32 s41, s43, 0
	s_mul_i32 s1, s33, s1
	s_add_u32 s1, s40, s1
	s_addc_u32 s40, 0, s41
	s_add_u32 s41, s0, s1
	s_cselect_b64 s[0:1], -1, 0
	s_cmp_lg_u64 s[0:1], 0
	s_addc_u32 s33, s33, s40
	s_mul_i32 s0, s6, s33
	s_mul_hi_u32 s1, s6, s41
	s_add_i32 s0, s1, s0
	s_mul_i32 s7, s7, s41
	s_add_i32 s0, s0, s7
	s_mul_i32 s6, s6, s41
	s_mul_hi_u32 s7, s33, s6
	s_mul_i32 s40, s33, s6
	s_mul_i32 s43, s41, s0
	s_mul_hi_u32 s6, s41, s6
	s_mul_hi_u32 s42, s41, s0
	s_add_u32 s6, s6, s43
	s_addc_u32 s42, 0, s42
	s_add_u32 s6, s6, s40
	s_mul_hi_u32 s1, s33, s0
	s_addc_u32 s6, s42, s7
	s_addc_u32 s1, s1, 0
	s_mul_i32 s0, s33, s0
	s_add_u32 s0, s6, s0
	s_addc_u32 s6, 0, s1
	s_add_u32 s7, s41, s0
	s_cselect_b64 s[0:1], -1, 0
	s_cmp_lg_u64 s[0:1], 0
	s_addc_u32 s6, s33, s6
	v_mad_u64_u32 v[4:5], s[0:1], v2, s6, 0
	v_mul_hi_u32 v6, v2, s7
	v_add_co_u32_e32 v9, vcc, v6, v4
	v_addc_co_u32_e32 v10, vcc, 0, v5, vcc
	v_mad_u64_u32 v[4:5], s[0:1], v3, s7, 0
	v_mad_u64_u32 v[6:7], s[0:1], v3, s6, 0
	v_add_co_u32_e32 v4, vcc, v9, v4
	v_addc_co_u32_e32 v4, vcc, v10, v5, vcc
	v_addc_co_u32_e32 v5, vcc, 0, v7, vcc
	v_add_co_u32_e32 v6, vcc, v4, v6
	v_addc_co_u32_e32 v7, vcc, 0, v5, vcc
	v_mul_lo_u32 v9, s23, v6
	v_mul_lo_u32 v10, s22, v7
	v_mad_u64_u32 v[4:5], s[0:1], s22, v6, 0
	v_add3_u32 v5, v5, v10, v9
	v_sub_u32_e32 v9, v3, v5
	v_mov_b32_e32 v10, s23
	v_sub_co_u32_e32 v4, vcc, v2, v4
	v_subb_co_u32_e64 v9, s[0:1], v9, v10, vcc
	v_subrev_co_u32_e64 v10, s[0:1], s22, v4
	v_subbrev_co_u32_e64 v9, s[0:1], 0, v9, s[0:1]
	v_cmp_le_u32_e64 s[0:1], s23, v9
	v_cndmask_b32_e64 v11, 0, -1, s[0:1]
	v_cmp_le_u32_e64 s[0:1], s22, v10
	v_cndmask_b32_e64 v10, 0, -1, s[0:1]
	v_cmp_eq_u32_e64 s[0:1], s23, v9
	v_cndmask_b32_e64 v9, v11, v10, s[0:1]
	v_add_co_u32_e64 v10, s[0:1], 2, v6
	v_addc_co_u32_e64 v11, s[0:1], 0, v7, s[0:1]
	v_add_co_u32_e64 v12, s[0:1], 1, v6
	v_addc_co_u32_e64 v13, s[0:1], 0, v7, s[0:1]
	v_subb_co_u32_e32 v5, vcc, v3, v5, vcc
	v_cmp_ne_u32_e64 s[0:1], 0, v9
	v_cmp_le_u32_e32 vcc, s23, v5
	v_cndmask_b32_e64 v9, v13, v11, s[0:1]
	v_cndmask_b32_e64 v11, 0, -1, vcc
	v_cmp_le_u32_e32 vcc, s22, v4
	v_cndmask_b32_e64 v4, 0, -1, vcc
	v_cmp_eq_u32_e32 vcc, s23, v5
	v_cndmask_b32_e32 v4, v11, v4, vcc
	v_cmp_ne_u32_e32 vcc, 0, v4
	v_cndmask_b32_e64 v4, v12, v10, s[0:1]
	v_cndmask_b32_e32 v7, v7, v9, vcc
	v_cndmask_b32_e32 v6, v6, v4, vcc
.LBB0_10:
	s_andn2_saveexec_b64 s[0:1], s[2:3]
	s_cbranch_execz .LBB0_12
; %bb.11:
	v_cvt_f32_u32_e32 v4, s22
	s_sub_i32 s2, 0, s22
	v_rcp_iflag_f32_e32 v4, v4
	v_mul_f32_e32 v4, 0x4f7ffffe, v4
	v_cvt_u32_f32_e32 v4, v4
	v_mul_lo_u32 v5, s2, v4
	v_mul_hi_u32 v5, v4, v5
	v_add_u32_e32 v4, v4, v5
	v_mul_hi_u32 v4, v2, v4
	v_mul_lo_u32 v5, v4, s22
	v_add_u32_e32 v6, 1, v4
	v_sub_u32_e32 v5, v2, v5
	v_subrev_u32_e32 v7, s22, v5
	v_cmp_le_u32_e32 vcc, s22, v5
	v_cndmask_b32_e32 v5, v5, v7, vcc
	v_cndmask_b32_e32 v4, v4, v6, vcc
	v_add_u32_e32 v6, 1, v4
	v_cmp_le_u32_e32 vcc, s22, v5
	v_cndmask_b32_e32 v6, v4, v6, vcc
	v_mov_b32_e32 v7, 0
.LBB0_12:
	s_or_b64 exec, exec, s[0:1]
	v_or_b32_e32 v5, s21, v7
	v_mov_b32_e32 v4, 0
	v_cmp_ne_u64_e32 vcc, 0, v[4:5]
                                        ; implicit-def: $vgpr4_vgpr5
	s_and_saveexec_b64 s[0:1], vcc
	s_xor_b64 s[2:3], exec, s[0:1]
	s_cbranch_execnz .LBB0_16
; %bb.13:
	s_andn2_saveexec_b64 s[0:1], s[2:3]
	s_cbranch_execnz .LBB0_17
.LBB0_14:
	s_or_b64 exec, exec, s[0:1]
	v_cmp_gt_u64_e32 vcc, s[18:19], v[4:5]
	s_and_saveexec_b64 s[0:1], vcc
	s_cbranch_execnz .LBB0_18
.LBB0_15:
	s_endpgm
.LBB0_16:
	v_cvt_f32_u32_e32 v4, s20
	v_cvt_f32_u32_e32 v5, s21
	s_sub_u32 s6, 0, s20
	s_subb_u32 s7, 0, s21
	v_madmk_f32 v4, v5, 0x4f800000, v4
	v_rcp_f32_e32 v4, v4
	v_mul_f32_e32 v4, 0x5f7ffffc, v4
	v_mul_f32_e32 v5, 0x2f800000, v4
	v_trunc_f32_e32 v5, v5
	v_madmk_f32 v4, v5, 0xcf800000, v4
	v_cvt_u32_f32_e32 v5, v5
	v_cvt_u32_f32_e32 v4, v4
	v_readfirstlane_b32 s33, v5
	v_readfirstlane_b32 s0, v4
	s_mul_i32 s1, s6, s33
	s_mul_hi_u32 s41, s6, s0
	s_mul_i32 s40, s7, s0
	s_add_i32 s1, s41, s1
	s_mul_i32 s42, s6, s0
	s_add_i32 s1, s1, s40
	s_mul_i32 s41, s0, s1
	s_mul_hi_u32 s43, s0, s42
	s_mul_hi_u32 s40, s0, s1
	s_add_u32 s41, s43, s41
	s_addc_u32 s40, 0, s40
	s_mul_hi_u32 s44, s33, s42
	s_mul_i32 s42, s33, s42
	s_add_u32 s41, s41, s42
	s_mul_hi_u32 s43, s33, s1
	s_addc_u32 s40, s40, s44
	s_addc_u32 s41, s43, 0
	s_mul_i32 s1, s33, s1
	s_add_u32 s1, s40, s1
	s_addc_u32 s40, 0, s41
	s_add_u32 s41, s0, s1
	s_cselect_b64 s[0:1], -1, 0
	s_cmp_lg_u64 s[0:1], 0
	s_addc_u32 s33, s33, s40
	s_mul_i32 s0, s6, s33
	s_mul_hi_u32 s1, s6, s41
	s_add_i32 s0, s1, s0
	s_mul_i32 s7, s7, s41
	s_add_i32 s0, s0, s7
	s_mul_i32 s6, s6, s41
	s_mul_hi_u32 s7, s33, s6
	s_mul_i32 s40, s33, s6
	s_mul_i32 s43, s41, s0
	s_mul_hi_u32 s6, s41, s6
	s_mul_hi_u32 s42, s41, s0
	s_add_u32 s6, s6, s43
	s_addc_u32 s42, 0, s42
	s_add_u32 s6, s6, s40
	s_mul_hi_u32 s1, s33, s0
	s_addc_u32 s6, s42, s7
	s_addc_u32 s1, s1, 0
	s_mul_i32 s0, s33, s0
	s_add_u32 s0, s6, s0
	s_addc_u32 s6, 0, s1
	s_add_u32 s7, s41, s0
	s_cselect_b64 s[0:1], -1, 0
	s_cmp_lg_u64 s[0:1], 0
	s_addc_u32 s6, s33, s6
	v_mad_u64_u32 v[4:5], s[0:1], v6, s6, 0
	v_mul_hi_u32 v9, v6, s7
	v_add_co_u32_e32 v11, vcc, v9, v4
	v_addc_co_u32_e32 v12, vcc, 0, v5, vcc
	v_mad_u64_u32 v[4:5], s[0:1], v7, s7, 0
	v_mad_u64_u32 v[9:10], s[0:1], v7, s6, 0
	v_add_co_u32_e32 v4, vcc, v11, v4
	v_addc_co_u32_e32 v4, vcc, v12, v5, vcc
	v_addc_co_u32_e32 v5, vcc, 0, v10, vcc
	v_add_co_u32_e32 v9, vcc, v4, v9
	v_addc_co_u32_e32 v10, vcc, 0, v5, vcc
	v_mul_lo_u32 v11, s21, v9
	v_mul_lo_u32 v12, s20, v10
	v_mad_u64_u32 v[4:5], s[0:1], s20, v9, 0
	v_add3_u32 v5, v5, v12, v11
	v_sub_u32_e32 v11, v7, v5
	v_mov_b32_e32 v12, s21
	v_sub_co_u32_e32 v4, vcc, v6, v4
	v_subb_co_u32_e64 v11, s[0:1], v11, v12, vcc
	v_subrev_co_u32_e64 v12, s[0:1], s20, v4
	v_subbrev_co_u32_e64 v11, s[0:1], 0, v11, s[0:1]
	v_cmp_le_u32_e64 s[0:1], s21, v11
	v_cndmask_b32_e64 v13, 0, -1, s[0:1]
	v_cmp_le_u32_e64 s[0:1], s20, v12
	v_cndmask_b32_e64 v12, 0, -1, s[0:1]
	v_cmp_eq_u32_e64 s[0:1], s21, v11
	v_cndmask_b32_e64 v11, v13, v12, s[0:1]
	v_add_co_u32_e64 v12, s[0:1], 2, v9
	v_addc_co_u32_e64 v13, s[0:1], 0, v10, s[0:1]
	v_add_co_u32_e64 v14, s[0:1], 1, v9
	v_addc_co_u32_e64 v15, s[0:1], 0, v10, s[0:1]
	v_subb_co_u32_e32 v5, vcc, v7, v5, vcc
	v_cmp_ne_u32_e64 s[0:1], 0, v11
	v_cmp_le_u32_e32 vcc, s21, v5
	v_cndmask_b32_e64 v11, v15, v13, s[0:1]
	v_cndmask_b32_e64 v13, 0, -1, vcc
	v_cmp_le_u32_e32 vcc, s20, v4
	v_cndmask_b32_e64 v4, 0, -1, vcc
	v_cmp_eq_u32_e32 vcc, s21, v5
	v_cndmask_b32_e32 v4, v13, v4, vcc
	v_cmp_ne_u32_e32 vcc, 0, v4
	v_cndmask_b32_e64 v4, v14, v12, s[0:1]
	v_cndmask_b32_e32 v5, v10, v11, vcc
	v_cndmask_b32_e32 v4, v9, v4, vcc
	s_andn2_saveexec_b64 s[0:1], s[2:3]
	s_cbranch_execz .LBB0_14
.LBB0_17:
	v_cvt_f32_u32_e32 v4, s20
	s_sub_i32 s2, 0, s20
	v_rcp_iflag_f32_e32 v4, v4
	v_mul_f32_e32 v4, 0x4f7ffffe, v4
	v_cvt_u32_f32_e32 v4, v4
	v_mul_lo_u32 v5, s2, v4
	v_mul_hi_u32 v5, v4, v5
	v_add_u32_e32 v4, v4, v5
	v_mul_hi_u32 v4, v6, v4
	v_mul_lo_u32 v5, v4, s20
	v_add_u32_e32 v9, 1, v4
	v_sub_u32_e32 v5, v6, v5
	v_subrev_u32_e32 v10, s20, v5
	v_cmp_le_u32_e32 vcc, s20, v5
	v_cndmask_b32_e32 v5, v5, v10, vcc
	v_cndmask_b32_e32 v4, v4, v9, vcc
	v_add_u32_e32 v9, 1, v4
	v_cmp_le_u32_e32 vcc, s20, v5
	v_cndmask_b32_e32 v4, v4, v9, vcc
	v_mov_b32_e32 v5, 0
	s_or_b64 exec, exec, s[0:1]
	v_cmp_gt_u64_e32 vcc, s[18:19], v[4:5]
	s_and_saveexec_b64 s[0:1], vcc
	s_cbranch_execz .LBB0_15
.LBB0_18:
	v_mul_lo_u32 v11, v5, s20
	v_mul_lo_u32 v12, v4, s21
	v_mad_u64_u32 v[9:10], s[0:1], v4, s20, 0
	v_mul_lo_u32 v13, v7, s22
	v_mul_lo_u32 v14, v6, s23
	v_add3_u32 v12, v10, v12, v11
	v_mad_u64_u32 v[10:11], s[0:1], v6, s22, 0
	v_sub_co_u32_e32 v6, vcc, v6, v9
	v_subb_co_u32_e32 v9, vcc, v7, v12, vcc
	v_add3_u32 v13, v11, v14, v13
	v_mul_lo_u32 v14, v3, s24
	v_mul_lo_u32 v15, v2, s25
	v_mad_u64_u32 v[11:12], s[0:1], v2, s24, 0
	v_sub_co_u32_e32 v7, vcc, v2, v10
	v_subb_co_u32_e32 v10, vcc, v3, v13, vcc
	v_add3_u32 v3, v12, v15, v14
	v_sub_co_u32_e32 v2, vcc, v0, v11
	v_subb_co_u32_e32 v3, vcc, v1, v3, vcc
	v_mul_lo_u32 v13, v1, s26
	v_mul_lo_u32 v14, v0, s27
	v_mad_u64_u32 v[0:1], s[0:1], v0, s26, 0
	v_mul_lo_u32 v15, v5, s8
	v_mul_lo_u32 v16, v4, s9
	v_mad_u64_u32 v[11:12], s[0:1], v4, s8, 0
	v_add3_u32 v1, v1, v14, v13
	v_sub_co_u32_e32 v0, vcc, v8, v0
	v_add3_u32 v12, v12, v16, v15
	v_mul_lo_u32 v8, v9, s10
	v_mul_lo_u32 v17, v6, s11
	v_mad_u64_u32 v[13:14], s[0:1], v6, s10, 0
	v_mul_lo_u32 v18, v10, s12
	v_mul_lo_u32 v19, v7, s13
	v_mad_u64_u32 v[15:16], s[0:1], v7, s12, 0
	v_add3_u32 v14, v14, v17, v8
	v_mul_lo_u32 v8, v3, s14
	v_add3_u32 v16, v16, v19, v18
	v_mul_lo_u32 v19, v2, s15
	v_mad_u64_u32 v[17:18], s[0:1], v2, s14, 0
	v_subb_co_u32_e32 v1, vcc, 0, v1, vcc
	v_add3_u32 v18, v18, v19, v8
	v_mul_lo_u32 v8, v1, s16
	v_mul_lo_u32 v21, v0, s17
	v_mad_u64_u32 v[19:20], s[0:1], v0, s16, 0
	s_load_dwordx4 s[0:3], s[4:5], 0x0
	s_load_dwordx2 s[6:7], s[4:5], 0x10
	v_lshlrev_b64 v[17:18], 2, v[17:18]
	v_add3_u32 v20, v20, v21, v8
	v_lshlrev_b64 v[19:20], 2, v[19:20]
	s_waitcnt lgkmcnt(0)
	v_mov_b32_e32 v8, s1
	v_add_co_u32_e32 v19, vcc, s0, v19
	v_addc_co_u32_e32 v8, vcc, v8, v20, vcc
	v_add_co_u32_e32 v17, vcc, v19, v17
	v_lshlrev_b64 v[15:16], 2, v[15:16]
	v_addc_co_u32_e32 v8, vcc, v8, v18, vcc
	v_add_co_u32_e32 v15, vcc, v17, v15
	v_lshlrev_b64 v[13:14], 2, v[13:14]
	;; [unrolled: 3-line block ×3, first 2 shown]
	v_addc_co_u32_e32 v8, vcc, v8, v14, vcc
	v_add_co_u32_e32 v11, vcc, v13, v11
	v_addc_co_u32_e32 v12, vcc, v8, v12, vcc
	v_mul_lo_u32 v8, v5, s28
	v_mul_lo_u32 v17, v4, s29
	v_mad_u64_u32 v[13:14], s[0:1], v4, s28, 0
	v_mul_lo_u32 v18, v9, s30
	v_mul_lo_u32 v19, v6, s31
	v_mad_u64_u32 v[15:16], s[0:1], v6, s30, 0
	v_add3_u32 v14, v14, v17, v8
	v_mul_lo_u32 v8, v10, s36
	v_add3_u32 v16, v16, v19, v18
	v_mul_lo_u32 v19, v7, s37
	v_mad_u64_u32 v[17:18], s[0:1], v7, s36, 0
	v_mul_lo_u32 v21, v2, s39
	v_mul_lo_u32 v23, v0, s35
	v_add3_u32 v18, v18, v19, v8
	v_mul_lo_u32 v8, v3, s38
	v_mad_u64_u32 v[19:20], s[0:1], v2, s38, 0
	v_add3_u32 v20, v20, v21, v8
	v_mul_lo_u32 v8, v1, s34
	v_mad_u64_u32 v[21:22], s[0:1], v0, s34, 0
	v_lshlrev_b64 v[19:20], 2, v[19:20]
	s_mov_b32 s0, 0x3fb8aa3b
	v_add3_u32 v22, v22, v23, v8
	v_lshlrev_b64 v[21:22], 2, v[21:22]
	v_mov_b32_e32 v8, s3
	v_add_co_u32_e32 v21, vcc, s2, v21
	v_addc_co_u32_e32 v8, vcc, v8, v22, vcc
	v_add_co_u32_e32 v19, vcc, v21, v19
	v_addc_co_u32_e32 v8, vcc, v8, v20, vcc
	global_load_dword v20, v[11:12], off
	v_lshlrev_b64 v[11:12], 2, v[17:18]
	s_mov_b32 s3, 0x3f317218
	v_add_co_u32_e32 v17, vcc, v19, v11
	v_addc_co_u32_e32 v8, vcc, v8, v12, vcc
	v_lshlrev_b64 v[11:12], 2, v[15:16]
	s_mov_b32 s2, 0x7f800000
	v_add_co_u32_e32 v15, vcc, v17, v11
	v_addc_co_u32_e32 v8, vcc, v8, v12, vcc
	v_lshlrev_b64 v[11:12], 2, v[13:14]
	v_add_co_u32_e32 v11, vcc, v15, v11
	v_addc_co_u32_e32 v12, vcc, v8, v12, vcc
	global_load_dword v8, v[11:12], off
	s_waitcnt vmcnt(0)
	v_mul_f32_e64 v8, v8, -v20
	v_mul_f32_e32 v11, 0x3fb8aa3b, v8
	v_fma_f32 v12, v8, s0, -v11
	v_rndne_f32_e32 v13, v11
	v_fmac_f32_e32 v12, 0x32a5705f, v8
	v_sub_f32_e32 v11, v11, v13
	v_add_f32_e32 v11, v11, v12
	v_exp_f32_e32 v11, v11
	v_cvt_i32_f32_e32 v12, v13
	s_mov_b32 s0, 0xc2ce8ed0
	v_cmp_ngt_f32_e32 vcc, s0, v8
	s_mov_b32 s0, 0x42b17218
	v_ldexp_f32 v11, v11, v12
	v_cndmask_b32_e32 v12, 0, v11, vcc
	v_mov_b32_e32 v11, 0x7f800000
	v_cmp_nlt_f32_e32 vcc, s0, v8
	v_cndmask_b32_e32 v8, v11, v12, vcc
	v_add_f32_e32 v14, 1.0, v8
	v_cvt_f64_f32_e32 v[12:13], v14
	v_add_f32_e32 v15, -1.0, v14
	v_sub_f32_e32 v16, v15, v14
	v_sub_f32_e32 v15, v8, v15
	v_frexp_exp_i32_f64_e32 v12, v[12:13]
	v_add_f32_e32 v13, 1.0, v16
	v_add_f32_e32 v13, v15, v13
	v_frexp_mant_f32_e32 v15, v14
	s_mov_b32 s0, 0x3f2aaaab
	v_cmp_gt_f32_e32 vcc, s0, v15
	s_load_dwordx2 s[0:1], s[4:5], 0xe0
	s_load_dwordx8 s[8:15], s[4:5], 0xc0
	v_subbrev_co_u32_e32 v12, vcc, 0, v12, vcc
	v_sub_u32_e32 v15, 0, v12
	v_ldexp_f32 v14, v14, v15
	v_ldexp_f32 v13, v13, v15
	v_add_f32_e32 v15, -1.0, v14
	v_add_f32_e32 v18, 1.0, v14
	v_add_f32_e32 v16, 1.0, v15
	v_add_f32_e32 v19, -1.0, v18
	v_sub_f32_e32 v16, v14, v16
	v_sub_f32_e32 v14, v14, v19
	v_add_f32_e32 v16, v13, v16
	v_add_f32_e32 v13, v13, v14
	;; [unrolled: 1-line block ×3, first 2 shown]
	v_rcp_f32_e32 v19, v14
	v_add_f32_e32 v17, v15, v16
	v_sub_f32_e32 v15, v15, v17
	v_add_f32_e32 v15, v16, v15
	v_sub_f32_e32 v16, v18, v14
	v_add_f32_e32 v13, v13, v16
	v_mul_f32_e32 v16, v17, v19
	v_mul_f32_e32 v18, v14, v16
	v_fma_f32 v20, v16, v14, -v18
	v_fmac_f32_e32 v20, v16, v13
	v_add_f32_e32 v21, v18, v20
	v_sub_f32_e32 v22, v17, v21
	v_sub_f32_e32 v17, v17, v22
	;; [unrolled: 1-line block ×4, first 2 shown]
	v_add_f32_e32 v15, v15, v17
	v_sub_f32_e32 v17, v18, v20
	v_add_f32_e32 v15, v17, v15
	v_add_f32_e32 v17, v22, v15
	v_mul_f32_e32 v18, v19, v17
	v_mul_f32_e32 v20, v14, v18
	v_fma_f32 v14, v18, v14, -v20
	v_fmac_f32_e32 v14, v18, v13
	v_sub_f32_e32 v13, v22, v17
	v_add_f32_e32 v13, v15, v13
	v_add_f32_e32 v15, v20, v14
	v_sub_f32_e32 v21, v17, v15
	v_sub_f32_e32 v17, v17, v21
	;; [unrolled: 1-line block ×4, first 2 shown]
	v_add_f32_e32 v13, v13, v15
	v_sub_f32_e32 v14, v20, v14
	v_add_f32_e32 v13, v14, v13
	v_add_f32_e32 v14, v16, v18
	;; [unrolled: 1-line block ×3, first 2 shown]
	v_sub_f32_e32 v15, v14, v16
	v_mul_f32_e32 v13, v19, v13
	v_sub_f32_e32 v15, v18, v15
	v_add_f32_e32 v13, v15, v13
	v_cvt_f32_i32_e32 v12, v12
	v_add_f32_e32 v15, v14, v13
	v_mul_f32_e32 v16, v15, v15
	v_mov_b32_e32 v17, 0x3ecc95a3
	v_fmac_f32_e32 v17, 0x3e9b6dac, v16
	v_mov_b32_e32 v18, 0x3f2aaada
	v_fmac_f32_e32 v18, v16, v17
	v_mul_f32_e32 v17, 0x3f317218, v12
	v_fma_f32 v19, v12, s3, -v17
	v_fmac_f32_e32 v19, 0xb102e308, v12
	v_sub_f32_e32 v12, v15, v14
	v_sub_f32_e32 v12, v13, v12
	v_add_f32_e32 v13, v17, v19
	v_sub_f32_e32 v14, v13, v17
	v_ldexp_f32 v17, v15, 1
	v_mul_f32_e32 v15, v15, v16
	v_mul_f32_e32 v15, v15, v18
	v_add_f32_e32 v16, v17, v15
	v_sub_f32_e32 v17, v16, v17
	v_ldexp_f32 v12, v12, 1
	v_sub_f32_e32 v15, v15, v17
	v_add_f32_e32 v12, v12, v15
	v_add_f32_e32 v15, v16, v12
	v_sub_f32_e32 v16, v15, v16
	v_sub_f32_e32 v12, v12, v16
	v_add_f32_e32 v16, v13, v15
	v_sub_f32_e32 v17, v16, v13
	v_sub_f32_e32 v18, v16, v17
	;; [unrolled: 1-line block ×5, first 2 shown]
	v_add_f32_e32 v13, v15, v13
	v_add_f32_e32 v15, v14, v12
	v_sub_f32_e32 v17, v15, v14
	v_sub_f32_e32 v18, v15, v17
	;; [unrolled: 1-line block ×4, first 2 shown]
	v_add_f32_e32 v13, v15, v13
	v_add_f32_e32 v12, v12, v14
	;; [unrolled: 1-line block ×3, first 2 shown]
	v_sub_f32_e32 v15, v14, v16
	v_sub_f32_e32 v13, v13, v15
	v_add_f32_e32 v12, v12, v13
	v_add_f32_e32 v12, v14, v12
	v_cmp_neq_f32_e32 vcc, s2, v8
	v_cndmask_b32_e32 v11, v11, v12, vcc
	s_waitcnt lgkmcnt(0)
	v_mul_lo_u32 v12, v5, s8
	v_mul_lo_u32 v13, v4, s9
	v_mad_u64_u32 v[4:5], s[2:3], v4, s8, 0
	v_mul_lo_u32 v17, v1, s0
	v_mul_lo_u32 v18, v0, s1
	v_mad_u64_u32 v[0:1], s[0:1], v0, s0, 0
	s_mov_b32 s2, 0x33800000
	v_cmp_lt_f32_e64 vcc, |v8|, s2
	v_cndmask_b32_e32 v11, v11, v8, vcc
	v_add3_u32 v5, v5, v13, v12
	v_mul_lo_u32 v12, v9, s10
	v_mul_lo_u32 v13, v6, s11
	v_mad_u64_u32 v[8:9], s[2:3], v6, s10, 0
	v_mul_lo_u32 v10, v10, s12
	v_mul_lo_u32 v14, v7, s13
	v_mad_u64_u32 v[6:7], s[2:3], v7, s12, 0
	;; [unrolled: 3-line block ×3, first 2 shown]
	v_add3_u32 v1, v1, v18, v17
	v_lshlrev_b64 v[0:1], 2, v[0:1]
	v_add3_u32 v9, v9, v13, v12
	v_add3_u32 v7, v7, v14, v10
	v_add3_u32 v3, v3, v16, v15
	v_mov_b32_e32 v10, s7
	v_add_co_u32_e32 v12, vcc, s6, v0
	v_addc_co_u32_e32 v10, vcc, v10, v1, vcc
	v_lshlrev_b64 v[0:1], 2, v[2:3]
	v_add_co_u32_e32 v2, vcc, v12, v0
	v_addc_co_u32_e32 v3, vcc, v10, v1, vcc
	v_lshlrev_b64 v[0:1], 2, v[6:7]
	;; [unrolled: 3-line block ×4, first 2 shown]
	v_add_co_u32_e32 v0, vcc, v2, v0
	v_addc_co_u32_e32 v1, vcc, v3, v1, vcc
	global_store_dword v[0:1], v11, off
	s_endpgm
	.section	.rodata,"a",@progbits
	.p2align	6, 0x0
	.amdhsa_kernel SoftMarginLossForward5d
		.amdhsa_group_segment_fixed_size 0
		.amdhsa_private_segment_fixed_size 0
		.amdhsa_kernarg_size 528
		.amdhsa_user_sgpr_count 6
		.amdhsa_user_sgpr_private_segment_buffer 1
		.amdhsa_user_sgpr_dispatch_ptr 0
		.amdhsa_user_sgpr_queue_ptr 0
		.amdhsa_user_sgpr_kernarg_segment_ptr 1
		.amdhsa_user_sgpr_dispatch_id 0
		.amdhsa_user_sgpr_flat_scratch_init 0
		.amdhsa_user_sgpr_private_segment_size 0
		.amdhsa_uses_dynamic_stack 0
		.amdhsa_system_sgpr_private_segment_wavefront_offset 0
		.amdhsa_system_sgpr_workgroup_id_x 1
		.amdhsa_system_sgpr_workgroup_id_y 0
		.amdhsa_system_sgpr_workgroup_id_z 0
		.amdhsa_system_sgpr_workgroup_info 0
		.amdhsa_system_vgpr_workitem_id 0
		.amdhsa_next_free_vgpr 24
		.amdhsa_next_free_sgpr 45
		.amdhsa_reserve_vcc 1
		.amdhsa_reserve_flat_scratch 0
		.amdhsa_float_round_mode_32 0
		.amdhsa_float_round_mode_16_64 0
		.amdhsa_float_denorm_mode_32 3
		.amdhsa_float_denorm_mode_16_64 3
		.amdhsa_dx10_clamp 1
		.amdhsa_ieee_mode 1
		.amdhsa_fp16_overflow 0
		.amdhsa_exception_fp_ieee_invalid_op 0
		.amdhsa_exception_fp_denorm_src 0
		.amdhsa_exception_fp_ieee_div_zero 0
		.amdhsa_exception_fp_ieee_overflow 0
		.amdhsa_exception_fp_ieee_underflow 0
		.amdhsa_exception_fp_ieee_inexact 0
		.amdhsa_exception_int_div_zero 0
	.end_amdhsa_kernel
	.text
.Lfunc_end0:
	.size	SoftMarginLossForward5d, .Lfunc_end0-SoftMarginLossForward5d
                                        ; -- End function
	.set SoftMarginLossForward5d.num_vgpr, 24
	.set SoftMarginLossForward5d.num_agpr, 0
	.set SoftMarginLossForward5d.numbered_sgpr, 45
	.set SoftMarginLossForward5d.num_named_barrier, 0
	.set SoftMarginLossForward5d.private_seg_size, 0
	.set SoftMarginLossForward5d.uses_vcc, 1
	.set SoftMarginLossForward5d.uses_flat_scratch, 0
	.set SoftMarginLossForward5d.has_dyn_sized_stack, 0
	.set SoftMarginLossForward5d.has_recursion, 0
	.set SoftMarginLossForward5d.has_indirect_call, 0
	.section	.AMDGPU.csdata,"",@progbits
; Kernel info:
; codeLenInByte = 4408
; TotalNumSgprs: 49
; NumVgprs: 24
; ScratchSize: 0
; MemoryBound: 0
; FloatMode: 240
; IeeeMode: 1
; LDSByteSize: 0 bytes/workgroup (compile time only)
; SGPRBlocks: 6
; VGPRBlocks: 5
; NumSGPRsForWavesPerEU: 49
; NumVGPRsForWavesPerEU: 24
; Occupancy: 10
; WaveLimiterHint : 1
; COMPUTE_PGM_RSRC2:SCRATCH_EN: 0
; COMPUTE_PGM_RSRC2:USER_SGPR: 6
; COMPUTE_PGM_RSRC2:TRAP_HANDLER: 0
; COMPUTE_PGM_RSRC2:TGID_X_EN: 1
; COMPUTE_PGM_RSRC2:TGID_Y_EN: 0
; COMPUTE_PGM_RSRC2:TGID_Z_EN: 0
; COMPUTE_PGM_RSRC2:TIDIG_COMP_CNT: 0
	.text
	.protected	SoftMarginLossBackward5d ; -- Begin function SoftMarginLossBackward5d
	.globl	SoftMarginLossBackward5d
	.p2align	8
	.type	SoftMarginLossBackward5d,@function
SoftMarginLossBackward5d:               ; @SoftMarginLossBackward5d
; %bb.0:
	s_load_dword s0, s[4:5], 0x174
	s_load_dwordx2 s[2:3], s[4:5], 0x98
	s_load_dwordx4 s[36:39], s[4:5], 0x88
	s_load_dwordx8 s[24:31], s[4:5], 0x68
	s_waitcnt lgkmcnt(0)
	s_and_b32 s0, s0, 0xffff
	s_mul_i32 s6, s6, s0
	s_mov_b32 s0, 0
	s_mov_b32 s1, s27
	s_cmp_lg_u64 s[0:1], 0
	v_add_u32_e32 v8, s6, v0
	s_cselect_b64 s[0:1], -1, 0
                                        ; implicit-def: $vgpr0_vgpr1
	s_and_saveexec_b64 s[6:7], s[0:1]
	s_xor_b64 s[6:7], exec, s[6:7]
	s_cbranch_execz .LBB1_2
; %bb.1:
	v_cvt_f32_u32_e32 v0, s26
	v_cvt_f32_u32_e32 v1, s27
	s_sub_u32 s8, 0, s26
	s_subb_u32 s9, 0, s27
	v_mov_b32_e32 v4, s27
	v_madmk_f32 v0, v1, 0x4f800000, v0
	v_rcp_f32_e32 v0, v0
	v_mul_f32_e32 v0, 0x5f7ffffc, v0
	v_mul_f32_e32 v1, 0x2f800000, v0
	v_trunc_f32_e32 v1, v1
	v_madmk_f32 v0, v1, 0xcf800000, v0
	v_cvt_u32_f32_e32 v1, v1
	v_cvt_u32_f32_e32 v0, v0
	v_readfirstlane_b32 s10, v1
	v_readfirstlane_b32 s0, v0
	s_mul_i32 s1, s8, s10
	s_mul_hi_u32 s12, s8, s0
	s_mul_i32 s11, s9, s0
	s_add_i32 s1, s12, s1
	s_mul_i32 s13, s8, s0
	s_add_i32 s1, s1, s11
	s_mul_i32 s12, s0, s1
	s_mul_hi_u32 s14, s0, s13
	s_mul_hi_u32 s11, s0, s1
	s_add_u32 s12, s14, s12
	s_addc_u32 s11, 0, s11
	s_mul_hi_u32 s15, s10, s13
	s_mul_i32 s13, s10, s13
	s_add_u32 s12, s12, s13
	s_mul_hi_u32 s14, s10, s1
	s_addc_u32 s11, s11, s15
	s_addc_u32 s12, s14, 0
	s_mul_i32 s1, s10, s1
	s_add_u32 s1, s11, s1
	s_addc_u32 s11, 0, s12
	s_add_u32 s12, s0, s1
	s_cselect_b64 s[0:1], -1, 0
	s_cmp_lg_u64 s[0:1], 0
	s_addc_u32 s10, s10, s11
	s_mul_i32 s0, s8, s10
	s_mul_hi_u32 s1, s8, s12
	s_add_i32 s0, s1, s0
	s_mul_i32 s9, s9, s12
	s_add_i32 s0, s0, s9
	s_mul_i32 s8, s8, s12
	s_mul_hi_u32 s9, s10, s8
	s_mul_i32 s11, s10, s8
	s_mul_i32 s14, s12, s0
	s_mul_hi_u32 s8, s12, s8
	s_mul_hi_u32 s13, s12, s0
	s_add_u32 s8, s8, s14
	s_addc_u32 s13, 0, s13
	s_add_u32 s8, s8, s11
	s_mul_hi_u32 s1, s10, s0
	s_addc_u32 s8, s13, s9
	s_addc_u32 s1, s1, 0
	s_mul_i32 s0, s10, s0
	s_add_u32 s0, s8, s0
	s_addc_u32 s8, 0, s1
	s_add_u32 s9, s12, s0
	s_cselect_b64 s[0:1], -1, 0
	s_cmp_lg_u64 s[0:1], 0
	s_addc_u32 s0, s10, s8
	v_mad_u64_u32 v[0:1], s[0:1], v8, s0, 0
	v_mul_hi_u32 v2, v8, s9
	v_add_co_u32_e32 v0, vcc, v2, v0
	v_addc_co_u32_e32 v3, vcc, 0, v1, vcc
	v_mad_u64_u32 v[0:1], s[0:1], s26, v3, 0
	v_mad_u64_u32 v[1:2], s[0:1], s27, v3, v[1:2]
	v_sub_co_u32_e32 v0, vcc, v8, v0
	v_sub_u32_e32 v2, 0, v1
	v_subb_co_u32_e64 v2, s[0:1], v2, v4, vcc
	v_subrev_co_u32_e64 v4, s[0:1], s26, v0
	v_subbrev_co_u32_e64 v2, s[0:1], 0, v2, s[0:1]
	v_cmp_le_u32_e64 s[0:1], s27, v2
	v_cndmask_b32_e64 v5, 0, -1, s[0:1]
	v_cmp_le_u32_e64 s[0:1], s26, v4
	v_cndmask_b32_e64 v4, 0, -1, s[0:1]
	v_cmp_eq_u32_e64 s[0:1], s27, v2
	v_cndmask_b32_e64 v2, v5, v4, s[0:1]
	v_add_co_u32_e64 v4, s[0:1], 2, v3
	v_addc_co_u32_e64 v5, s[0:1], 0, 0, s[0:1]
	v_add_co_u32_e64 v6, s[0:1], 1, v3
	v_addc_co_u32_e64 v7, s[0:1], 0, 0, s[0:1]
	v_subb_co_u32_e32 v1, vcc, 0, v1, vcc
	v_cmp_ne_u32_e64 s[0:1], 0, v2
	v_cmp_le_u32_e32 vcc, s27, v1
	v_cndmask_b32_e64 v2, v7, v5, s[0:1]
	v_cndmask_b32_e64 v5, 0, -1, vcc
	v_cmp_le_u32_e32 vcc, s26, v0
	v_cndmask_b32_e64 v0, 0, -1, vcc
	v_cmp_eq_u32_e32 vcc, s27, v1
	v_cndmask_b32_e32 v0, v5, v0, vcc
	v_cmp_ne_u32_e32 vcc, 0, v0
	v_cndmask_b32_e64 v0, v6, v4, s[0:1]
	v_cndmask_b32_e32 v1, 0, v2, vcc
	v_cndmask_b32_e32 v0, v3, v0, vcc
.LBB1_2:
	s_andn2_saveexec_b64 s[0:1], s[6:7]
	s_cbranch_execz .LBB1_4
; %bb.3:
	v_cvt_f32_u32_e32 v0, s26
	s_sub_i32 s6, 0, s26
	v_rcp_iflag_f32_e32 v0, v0
	v_mul_f32_e32 v0, 0x4f7ffffe, v0
	v_cvt_u32_f32_e32 v0, v0
	v_mul_lo_u32 v1, s6, v0
	v_mul_hi_u32 v1, v0, v1
	v_add_u32_e32 v0, v0, v1
	v_mul_hi_u32 v0, v8, v0
	v_mul_lo_u32 v1, v0, s26
	v_add_u32_e32 v2, 1, v0
	v_sub_u32_e32 v1, v8, v1
	v_subrev_u32_e32 v3, s26, v1
	v_cmp_le_u32_e32 vcc, s26, v1
	v_cndmask_b32_e32 v1, v1, v3, vcc
	v_cndmask_b32_e32 v0, v0, v2, vcc
	v_add_u32_e32 v2, 1, v0
	v_cmp_le_u32_e32 vcc, s26, v1
	v_cndmask_b32_e32 v0, v0, v2, vcc
	v_mov_b32_e32 v1, 0
.LBB1_4:
	s_or_b64 exec, exec, s[0:1]
	v_or_b32_e32 v3, s25, v1
	v_mov_b32_e32 v2, 0
	v_cmp_ne_u64_e32 vcc, 0, v[2:3]
                                        ; implicit-def: $vgpr2_vgpr3
	s_and_saveexec_b64 s[0:1], vcc
	s_xor_b64 s[6:7], exec, s[0:1]
	s_cbranch_execz .LBB1_6
; %bb.5:
	v_cvt_f32_u32_e32 v2, s24
	v_cvt_f32_u32_e32 v3, s25
	s_sub_u32 s8, 0, s24
	s_subb_u32 s9, 0, s25
	v_madmk_f32 v2, v3, 0x4f800000, v2
	v_rcp_f32_e32 v2, v2
	v_mul_f32_e32 v2, 0x5f7ffffc, v2
	v_mul_f32_e32 v3, 0x2f800000, v2
	v_trunc_f32_e32 v3, v3
	v_madmk_f32 v2, v3, 0xcf800000, v2
	v_cvt_u32_f32_e32 v3, v3
	v_cvt_u32_f32_e32 v2, v2
	v_readfirstlane_b32 s10, v3
	v_readfirstlane_b32 s0, v2
	s_mul_i32 s1, s8, s10
	s_mul_hi_u32 s12, s8, s0
	s_mul_i32 s11, s9, s0
	s_add_i32 s1, s12, s1
	s_mul_i32 s13, s8, s0
	s_add_i32 s1, s1, s11
	s_mul_i32 s12, s0, s1
	s_mul_hi_u32 s14, s0, s13
	s_mul_hi_u32 s11, s0, s1
	s_add_u32 s12, s14, s12
	s_addc_u32 s11, 0, s11
	s_mul_hi_u32 s15, s10, s13
	s_mul_i32 s13, s10, s13
	s_add_u32 s12, s12, s13
	s_mul_hi_u32 s14, s10, s1
	s_addc_u32 s11, s11, s15
	s_addc_u32 s12, s14, 0
	s_mul_i32 s1, s10, s1
	s_add_u32 s1, s11, s1
	s_addc_u32 s11, 0, s12
	s_add_u32 s12, s0, s1
	s_cselect_b64 s[0:1], -1, 0
	s_cmp_lg_u64 s[0:1], 0
	s_addc_u32 s10, s10, s11
	s_mul_i32 s0, s8, s10
	s_mul_hi_u32 s1, s8, s12
	s_add_i32 s0, s1, s0
	s_mul_i32 s9, s9, s12
	s_add_i32 s0, s0, s9
	s_mul_i32 s8, s8, s12
	s_mul_hi_u32 s9, s10, s8
	s_mul_i32 s11, s10, s8
	s_mul_i32 s14, s12, s0
	s_mul_hi_u32 s8, s12, s8
	s_mul_hi_u32 s13, s12, s0
	s_add_u32 s8, s8, s14
	s_addc_u32 s13, 0, s13
	s_add_u32 s8, s8, s11
	s_mul_hi_u32 s1, s10, s0
	s_addc_u32 s8, s13, s9
	s_addc_u32 s1, s1, 0
	s_mul_i32 s0, s10, s0
	s_add_u32 s0, s8, s0
	s_addc_u32 s8, 0, s1
	s_add_u32 s9, s12, s0
	s_cselect_b64 s[0:1], -1, 0
	s_cmp_lg_u64 s[0:1], 0
	s_addc_u32 s8, s10, s8
	v_mad_u64_u32 v[2:3], s[0:1], v0, s8, 0
	v_mul_hi_u32 v4, v0, s9
	v_add_co_u32_e32 v6, vcc, v4, v2
	v_addc_co_u32_e32 v7, vcc, 0, v3, vcc
	v_mad_u64_u32 v[2:3], s[0:1], v1, s9, 0
	v_mad_u64_u32 v[4:5], s[0:1], v1, s8, 0
	v_add_co_u32_e32 v2, vcc, v6, v2
	v_addc_co_u32_e32 v2, vcc, v7, v3, vcc
	v_addc_co_u32_e32 v3, vcc, 0, v5, vcc
	v_add_co_u32_e32 v4, vcc, v2, v4
	v_addc_co_u32_e32 v5, vcc, 0, v3, vcc
	v_mul_lo_u32 v6, s25, v4
	v_mul_lo_u32 v7, s24, v5
	v_mad_u64_u32 v[2:3], s[0:1], s24, v4, 0
	v_add3_u32 v3, v3, v7, v6
	v_sub_u32_e32 v6, v1, v3
	v_mov_b32_e32 v7, s25
	v_sub_co_u32_e32 v2, vcc, v0, v2
	v_subb_co_u32_e64 v6, s[0:1], v6, v7, vcc
	v_subrev_co_u32_e64 v7, s[0:1], s24, v2
	v_subbrev_co_u32_e64 v6, s[0:1], 0, v6, s[0:1]
	v_cmp_le_u32_e64 s[0:1], s25, v6
	v_cndmask_b32_e64 v9, 0, -1, s[0:1]
	v_cmp_le_u32_e64 s[0:1], s24, v7
	v_cndmask_b32_e64 v7, 0, -1, s[0:1]
	v_cmp_eq_u32_e64 s[0:1], s25, v6
	v_cndmask_b32_e64 v6, v9, v7, s[0:1]
	v_add_co_u32_e64 v7, s[0:1], 2, v4
	v_addc_co_u32_e64 v9, s[0:1], 0, v5, s[0:1]
	v_add_co_u32_e64 v10, s[0:1], 1, v4
	v_addc_co_u32_e64 v11, s[0:1], 0, v5, s[0:1]
	v_subb_co_u32_e32 v3, vcc, v1, v3, vcc
	v_cmp_ne_u32_e64 s[0:1], 0, v6
	v_cmp_le_u32_e32 vcc, s25, v3
	v_cndmask_b32_e64 v6, v11, v9, s[0:1]
	v_cndmask_b32_e64 v9, 0, -1, vcc
	v_cmp_le_u32_e32 vcc, s24, v2
	v_cndmask_b32_e64 v2, 0, -1, vcc
	v_cmp_eq_u32_e32 vcc, s25, v3
	v_cndmask_b32_e32 v2, v9, v2, vcc
	v_cmp_ne_u32_e32 vcc, 0, v2
	v_cndmask_b32_e64 v2, v10, v7, s[0:1]
	v_cndmask_b32_e32 v3, v5, v6, vcc
	v_cndmask_b32_e32 v2, v4, v2, vcc
.LBB1_6:
	s_or_saveexec_b64 s[0:1], s[6:7]
	s_load_dwordx16 s[8:23], s[4:5], 0x28
	s_xor_b64 exec, exec, s[0:1]
	s_cbranch_execz .LBB1_8
; %bb.7:
	v_cvt_f32_u32_e32 v2, s24
	s_sub_i32 s6, 0, s24
	v_rcp_iflag_f32_e32 v2, v2
	v_mul_f32_e32 v2, 0x4f7ffffe, v2
	v_cvt_u32_f32_e32 v2, v2
	v_mul_lo_u32 v3, s6, v2
	v_mul_hi_u32 v3, v2, v3
	v_add_u32_e32 v2, v2, v3
	v_mul_hi_u32 v2, v0, v2
	v_mul_lo_u32 v3, v2, s24
	v_add_u32_e32 v4, 1, v2
	v_sub_u32_e32 v3, v0, v3
	v_subrev_u32_e32 v5, s24, v3
	v_cmp_le_u32_e32 vcc, s24, v3
	v_cndmask_b32_e32 v3, v3, v5, vcc
	v_cndmask_b32_e32 v2, v2, v4, vcc
	v_add_u32_e32 v4, 1, v2
	v_cmp_le_u32_e32 vcc, s24, v3
	v_cndmask_b32_e32 v2, v2, v4, vcc
	v_mov_b32_e32 v3, 0
.LBB1_8:
	s_or_b64 exec, exec, s[0:1]
	s_waitcnt lgkmcnt(0)
	v_or_b32_e32 v5, s23, v3
	v_mov_b32_e32 v4, 0
	v_cmp_ne_u64_e32 vcc, 0, v[4:5]
                                        ; implicit-def: $vgpr6_vgpr7
	s_and_saveexec_b64 s[0:1], vcc
	s_xor_b64 s[6:7], exec, s[0:1]
	s_cbranch_execz .LBB1_10
; %bb.9:
	v_cvt_f32_u32_e32 v4, s22
	v_cvt_f32_u32_e32 v5, s23
	s_sub_u32 s33, 0, s22
	s_subb_u32 s34, 0, s23
	v_madmk_f32 v4, v5, 0x4f800000, v4
	v_rcp_f32_e32 v4, v4
	v_mul_f32_e32 v4, 0x5f7ffffc, v4
	v_mul_f32_e32 v5, 0x2f800000, v4
	v_trunc_f32_e32 v5, v5
	v_madmk_f32 v4, v5, 0xcf800000, v4
	v_cvt_u32_f32_e32 v5, v5
	v_cvt_u32_f32_e32 v4, v4
	v_readfirstlane_b32 s35, v5
	v_readfirstlane_b32 s0, v4
	s_mul_i32 s1, s33, s35
	s_mul_hi_u32 s41, s33, s0
	s_mul_i32 s40, s34, s0
	s_add_i32 s1, s41, s1
	s_mul_i32 s42, s33, s0
	s_add_i32 s1, s1, s40
	s_mul_i32 s41, s0, s1
	s_mul_hi_u32 s43, s0, s42
	s_mul_hi_u32 s40, s0, s1
	s_add_u32 s41, s43, s41
	s_addc_u32 s40, 0, s40
	s_mul_hi_u32 s44, s35, s42
	s_mul_i32 s42, s35, s42
	s_add_u32 s41, s41, s42
	s_mul_hi_u32 s43, s35, s1
	s_addc_u32 s40, s40, s44
	s_addc_u32 s41, s43, 0
	s_mul_i32 s1, s35, s1
	s_add_u32 s1, s40, s1
	s_addc_u32 s40, 0, s41
	s_add_u32 s41, s0, s1
	s_cselect_b64 s[0:1], -1, 0
	s_cmp_lg_u64 s[0:1], 0
	s_addc_u32 s35, s35, s40
	s_mul_i32 s0, s33, s35
	s_mul_hi_u32 s1, s33, s41
	s_add_i32 s0, s1, s0
	s_mul_i32 s34, s34, s41
	s_add_i32 s0, s0, s34
	s_mul_i32 s33, s33, s41
	s_mul_hi_u32 s34, s35, s33
	s_mul_i32 s40, s35, s33
	s_mul_i32 s43, s41, s0
	s_mul_hi_u32 s33, s41, s33
	s_mul_hi_u32 s42, s41, s0
	s_add_u32 s33, s33, s43
	s_addc_u32 s42, 0, s42
	s_add_u32 s33, s33, s40
	s_mul_hi_u32 s1, s35, s0
	s_addc_u32 s33, s42, s34
	s_addc_u32 s1, s1, 0
	s_mul_i32 s0, s35, s0
	s_add_u32 s0, s33, s0
	s_addc_u32 s33, 0, s1
	s_add_u32 s34, s41, s0
	s_cselect_b64 s[0:1], -1, 0
	s_cmp_lg_u64 s[0:1], 0
	s_addc_u32 s33, s35, s33
	v_mad_u64_u32 v[4:5], s[0:1], v2, s33, 0
	v_mul_hi_u32 v6, v2, s34
	v_add_co_u32_e32 v9, vcc, v6, v4
	v_addc_co_u32_e32 v10, vcc, 0, v5, vcc
	v_mad_u64_u32 v[4:5], s[0:1], v3, s34, 0
	v_mad_u64_u32 v[6:7], s[0:1], v3, s33, 0
	v_add_co_u32_e32 v4, vcc, v9, v4
	v_addc_co_u32_e32 v4, vcc, v10, v5, vcc
	v_addc_co_u32_e32 v5, vcc, 0, v7, vcc
	v_add_co_u32_e32 v6, vcc, v4, v6
	v_addc_co_u32_e32 v7, vcc, 0, v5, vcc
	v_mul_lo_u32 v9, s23, v6
	v_mul_lo_u32 v10, s22, v7
	v_mad_u64_u32 v[4:5], s[0:1], s22, v6, 0
	v_add3_u32 v5, v5, v10, v9
	v_sub_u32_e32 v9, v3, v5
	v_mov_b32_e32 v10, s23
	v_sub_co_u32_e32 v4, vcc, v2, v4
	v_subb_co_u32_e64 v9, s[0:1], v9, v10, vcc
	v_subrev_co_u32_e64 v10, s[0:1], s22, v4
	v_subbrev_co_u32_e64 v9, s[0:1], 0, v9, s[0:1]
	v_cmp_le_u32_e64 s[0:1], s23, v9
	v_cndmask_b32_e64 v11, 0, -1, s[0:1]
	v_cmp_le_u32_e64 s[0:1], s22, v10
	v_cndmask_b32_e64 v10, 0, -1, s[0:1]
	v_cmp_eq_u32_e64 s[0:1], s23, v9
	v_cndmask_b32_e64 v9, v11, v10, s[0:1]
	v_add_co_u32_e64 v10, s[0:1], 2, v6
	v_addc_co_u32_e64 v11, s[0:1], 0, v7, s[0:1]
	v_add_co_u32_e64 v12, s[0:1], 1, v6
	v_addc_co_u32_e64 v13, s[0:1], 0, v7, s[0:1]
	v_subb_co_u32_e32 v5, vcc, v3, v5, vcc
	v_cmp_ne_u32_e64 s[0:1], 0, v9
	v_cmp_le_u32_e32 vcc, s23, v5
	v_cndmask_b32_e64 v9, v13, v11, s[0:1]
	v_cndmask_b32_e64 v11, 0, -1, vcc
	v_cmp_le_u32_e32 vcc, s22, v4
	v_cndmask_b32_e64 v4, 0, -1, vcc
	v_cmp_eq_u32_e32 vcc, s23, v5
	v_cndmask_b32_e32 v4, v11, v4, vcc
	v_cmp_ne_u32_e32 vcc, 0, v4
	v_cndmask_b32_e64 v4, v12, v10, s[0:1]
	v_cndmask_b32_e32 v7, v7, v9, vcc
	v_cndmask_b32_e32 v6, v6, v4, vcc
.LBB1_10:
	s_andn2_saveexec_b64 s[0:1], s[6:7]
	s_cbranch_execz .LBB1_12
; %bb.11:
	v_cvt_f32_u32_e32 v4, s22
	s_sub_i32 s6, 0, s22
	v_rcp_iflag_f32_e32 v4, v4
	v_mul_f32_e32 v4, 0x4f7ffffe, v4
	v_cvt_u32_f32_e32 v4, v4
	v_mul_lo_u32 v5, s6, v4
	v_mul_hi_u32 v5, v4, v5
	v_add_u32_e32 v4, v4, v5
	v_mul_hi_u32 v4, v2, v4
	v_mul_lo_u32 v5, v4, s22
	v_add_u32_e32 v6, 1, v4
	v_sub_u32_e32 v5, v2, v5
	v_subrev_u32_e32 v7, s22, v5
	v_cmp_le_u32_e32 vcc, s22, v5
	v_cndmask_b32_e32 v5, v5, v7, vcc
	v_cndmask_b32_e32 v4, v4, v6, vcc
	v_add_u32_e32 v6, 1, v4
	v_cmp_le_u32_e32 vcc, s22, v5
	v_cndmask_b32_e32 v6, v4, v6, vcc
	v_mov_b32_e32 v7, 0
.LBB1_12:
	s_or_b64 exec, exec, s[0:1]
	v_or_b32_e32 v5, s21, v7
	v_mov_b32_e32 v4, 0
	v_cmp_ne_u64_e32 vcc, 0, v[4:5]
                                        ; implicit-def: $vgpr4_vgpr5
	s_and_saveexec_b64 s[0:1], vcc
	s_xor_b64 s[6:7], exec, s[0:1]
	s_cbranch_execnz .LBB1_16
; %bb.13:
	s_andn2_saveexec_b64 s[0:1], s[6:7]
	s_cbranch_execnz .LBB1_17
.LBB1_14:
	s_or_b64 exec, exec, s[0:1]
	v_cmp_gt_u64_e32 vcc, s[18:19], v[4:5]
	s_and_saveexec_b64 s[0:1], vcc
	s_cbranch_execnz .LBB1_18
.LBB1_15:
	s_endpgm
.LBB1_16:
	v_cvt_f32_u32_e32 v4, s20
	v_cvt_f32_u32_e32 v5, s21
	s_sub_u32 s33, 0, s20
	s_subb_u32 s34, 0, s21
	v_madmk_f32 v4, v5, 0x4f800000, v4
	v_rcp_f32_e32 v4, v4
	v_mul_f32_e32 v4, 0x5f7ffffc, v4
	v_mul_f32_e32 v5, 0x2f800000, v4
	v_trunc_f32_e32 v5, v5
	v_madmk_f32 v4, v5, 0xcf800000, v4
	v_cvt_u32_f32_e32 v5, v5
	v_cvt_u32_f32_e32 v4, v4
	v_readfirstlane_b32 s35, v5
	v_readfirstlane_b32 s0, v4
	s_mul_i32 s1, s33, s35
	s_mul_hi_u32 s41, s33, s0
	s_mul_i32 s40, s34, s0
	s_add_i32 s1, s41, s1
	s_mul_i32 s42, s33, s0
	s_add_i32 s1, s1, s40
	s_mul_i32 s41, s0, s1
	s_mul_hi_u32 s43, s0, s42
	s_mul_hi_u32 s40, s0, s1
	s_add_u32 s41, s43, s41
	s_addc_u32 s40, 0, s40
	s_mul_hi_u32 s44, s35, s42
	s_mul_i32 s42, s35, s42
	s_add_u32 s41, s41, s42
	s_mul_hi_u32 s43, s35, s1
	s_addc_u32 s40, s40, s44
	s_addc_u32 s41, s43, 0
	s_mul_i32 s1, s35, s1
	s_add_u32 s1, s40, s1
	s_addc_u32 s40, 0, s41
	s_add_u32 s41, s0, s1
	s_cselect_b64 s[0:1], -1, 0
	s_cmp_lg_u64 s[0:1], 0
	s_addc_u32 s35, s35, s40
	s_mul_i32 s0, s33, s35
	s_mul_hi_u32 s1, s33, s41
	s_add_i32 s0, s1, s0
	s_mul_i32 s34, s34, s41
	s_add_i32 s0, s0, s34
	s_mul_i32 s33, s33, s41
	s_mul_hi_u32 s34, s35, s33
	s_mul_i32 s40, s35, s33
	s_mul_i32 s43, s41, s0
	s_mul_hi_u32 s33, s41, s33
	s_mul_hi_u32 s42, s41, s0
	s_add_u32 s33, s33, s43
	s_addc_u32 s42, 0, s42
	s_add_u32 s33, s33, s40
	s_mul_hi_u32 s1, s35, s0
	s_addc_u32 s33, s42, s34
	s_addc_u32 s1, s1, 0
	s_mul_i32 s0, s35, s0
	s_add_u32 s0, s33, s0
	s_addc_u32 s33, 0, s1
	s_add_u32 s34, s41, s0
	s_cselect_b64 s[0:1], -1, 0
	s_cmp_lg_u64 s[0:1], 0
	s_addc_u32 s33, s35, s33
	v_mad_u64_u32 v[4:5], s[0:1], v6, s33, 0
	v_mul_hi_u32 v9, v6, s34
	v_add_co_u32_e32 v11, vcc, v9, v4
	v_addc_co_u32_e32 v12, vcc, 0, v5, vcc
	v_mad_u64_u32 v[4:5], s[0:1], v7, s34, 0
	v_mad_u64_u32 v[9:10], s[0:1], v7, s33, 0
	v_add_co_u32_e32 v4, vcc, v11, v4
	v_addc_co_u32_e32 v4, vcc, v12, v5, vcc
	v_addc_co_u32_e32 v5, vcc, 0, v10, vcc
	v_add_co_u32_e32 v9, vcc, v4, v9
	v_addc_co_u32_e32 v10, vcc, 0, v5, vcc
	v_mul_lo_u32 v11, s21, v9
	v_mul_lo_u32 v12, s20, v10
	v_mad_u64_u32 v[4:5], s[0:1], s20, v9, 0
	v_add3_u32 v5, v5, v12, v11
	v_sub_u32_e32 v11, v7, v5
	v_mov_b32_e32 v12, s21
	v_sub_co_u32_e32 v4, vcc, v6, v4
	v_subb_co_u32_e64 v11, s[0:1], v11, v12, vcc
	v_subrev_co_u32_e64 v12, s[0:1], s20, v4
	v_subbrev_co_u32_e64 v11, s[0:1], 0, v11, s[0:1]
	v_cmp_le_u32_e64 s[0:1], s21, v11
	v_cndmask_b32_e64 v13, 0, -1, s[0:1]
	v_cmp_le_u32_e64 s[0:1], s20, v12
	v_cndmask_b32_e64 v12, 0, -1, s[0:1]
	v_cmp_eq_u32_e64 s[0:1], s21, v11
	v_cndmask_b32_e64 v11, v13, v12, s[0:1]
	v_add_co_u32_e64 v12, s[0:1], 2, v9
	v_addc_co_u32_e64 v13, s[0:1], 0, v10, s[0:1]
	v_add_co_u32_e64 v14, s[0:1], 1, v9
	v_addc_co_u32_e64 v15, s[0:1], 0, v10, s[0:1]
	v_subb_co_u32_e32 v5, vcc, v7, v5, vcc
	v_cmp_ne_u32_e64 s[0:1], 0, v11
	v_cmp_le_u32_e32 vcc, s21, v5
	v_cndmask_b32_e64 v11, v15, v13, s[0:1]
	v_cndmask_b32_e64 v13, 0, -1, vcc
	v_cmp_le_u32_e32 vcc, s20, v4
	v_cndmask_b32_e64 v4, 0, -1, vcc
	v_cmp_eq_u32_e32 vcc, s21, v5
	v_cndmask_b32_e32 v4, v13, v4, vcc
	v_cmp_ne_u32_e32 vcc, 0, v4
	v_cndmask_b32_e64 v4, v14, v12, s[0:1]
	v_cndmask_b32_e32 v5, v10, v11, vcc
	v_cndmask_b32_e32 v4, v9, v4, vcc
	s_andn2_saveexec_b64 s[0:1], s[6:7]
	s_cbranch_execz .LBB1_14
.LBB1_17:
	v_cvt_f32_u32_e32 v4, s20
	s_sub_i32 s6, 0, s20
	v_rcp_iflag_f32_e32 v4, v4
	v_mul_f32_e32 v4, 0x4f7ffffe, v4
	v_cvt_u32_f32_e32 v4, v4
	v_mul_lo_u32 v5, s6, v4
	v_mul_hi_u32 v5, v4, v5
	v_add_u32_e32 v4, v4, v5
	v_mul_hi_u32 v4, v6, v4
	v_mul_lo_u32 v5, v4, s20
	v_add_u32_e32 v9, 1, v4
	v_sub_u32_e32 v5, v6, v5
	v_subrev_u32_e32 v10, s20, v5
	v_cmp_le_u32_e32 vcc, s20, v5
	v_cndmask_b32_e32 v5, v5, v10, vcc
	v_cndmask_b32_e32 v4, v4, v9, vcc
	v_add_u32_e32 v9, 1, v4
	v_cmp_le_u32_e32 vcc, s20, v5
	v_cndmask_b32_e32 v4, v4, v9, vcc
	v_mov_b32_e32 v5, 0
	s_or_b64 exec, exec, s[0:1]
	v_cmp_gt_u64_e32 vcc, s[18:19], v[4:5]
	s_and_saveexec_b64 s[0:1], vcc
	s_cbranch_execz .LBB1_15
.LBB1_18:
	v_mul_lo_u32 v11, v5, s20
	v_mul_lo_u32 v12, v4, s21
	v_mad_u64_u32 v[9:10], s[0:1], v4, s20, 0
	v_mul_lo_u32 v13, v7, s22
	v_mul_lo_u32 v14, v6, s23
	v_add3_u32 v12, v10, v12, v11
	v_mad_u64_u32 v[10:11], s[0:1], v6, s22, 0
	v_sub_co_u32_e32 v6, vcc, v6, v9
	v_subb_co_u32_e32 v7, vcc, v7, v12, vcc
	v_add3_u32 v9, v11, v14, v13
	v_mul_lo_u32 v13, v3, s24
	v_mul_lo_u32 v14, v2, s25
	v_mad_u64_u32 v[11:12], s[0:1], v2, s24, 0
	v_sub_co_u32_e32 v2, vcc, v2, v10
	v_subb_co_u32_e32 v9, vcc, v3, v9, vcc
	v_add3_u32 v10, v12, v14, v13
	v_sub_co_u32_e32 v3, vcc, v0, v11
	v_subb_co_u32_e32 v10, vcc, v1, v10, vcc
	v_mul_lo_u32 v13, v1, s26
	v_mul_lo_u32 v14, v0, s27
	v_mad_u64_u32 v[0:1], s[0:1], v0, s26, 0
	v_mul_lo_u32 v19, v7, s10
	v_mul_lo_u32 v20, v6, s11
	v_add3_u32 v1, v1, v14, v13
	v_mad_u64_u32 v[13:14], s[0:1], v6, s10, 0
	v_mul_lo_u32 v17, v5, s8
	v_mul_lo_u32 v18, v4, s9
	v_mad_u64_u32 v[11:12], s[0:1], v4, s8, 0
	v_mul_lo_u32 v21, v9, s12
	v_mul_lo_u32 v22, v2, s13
	v_mad_u64_u32 v[15:16], s[0:1], v2, s12, 0
	v_sub_co_u32_e32 v0, vcc, v8, v0
	v_subb_co_u32_e32 v1, vcc, 0, v1, vcc
	v_add3_u32 v14, v14, v20, v19
	v_mul_lo_u32 v8, v1, s16
	v_mul_lo_u32 v23, v0, s17
	v_mad_u64_u32 v[19:20], s[0:1], v0, s16, 0
	v_add3_u32 v12, v12, v18, v17
	v_add3_u32 v16, v16, v22, v21
	v_mul_lo_u32 v21, v10, s14
	v_mul_lo_u32 v22, v3, s15
	v_mad_u64_u32 v[17:18], s[0:1], v3, s14, 0
	s_load_dwordx8 s[8:15], s[4:5], 0x0
	v_add3_u32 v20, v20, v23, v8
	v_lshlrev_b64 v[19:20], 2, v[19:20]
	v_add3_u32 v18, v18, v22, v21
	v_lshlrev_b64 v[17:18], 2, v[17:18]
	s_waitcnt lgkmcnt(0)
	v_mov_b32_e32 v8, s9
	v_add_co_u32_e32 v19, vcc, s8, v19
	v_addc_co_u32_e32 v8, vcc, v8, v20, vcc
	v_add_co_u32_e32 v17, vcc, v19, v17
	v_lshlrev_b64 v[15:16], 2, v[15:16]
	v_addc_co_u32_e32 v8, vcc, v8, v18, vcc
	v_add_co_u32_e32 v15, vcc, v17, v15
	v_lshlrev_b64 v[13:14], 2, v[13:14]
	v_addc_co_u32_e32 v8, vcc, v8, v16, vcc
	v_add_co_u32_e32 v17, vcc, v15, v13
	v_addc_co_u32_e32 v8, vcc, v8, v14, vcc
	v_mul_lo_u32 v18, v5, s28
	v_mul_lo_u32 v19, v4, s29
	v_mad_u64_u32 v[13:14], s[0:1], v4, s28, 0
	v_mul_lo_u32 v20, v7, s30
	v_mul_lo_u32 v21, v6, s31
	v_mad_u64_u32 v[15:16], s[0:1], v6, s30, 0
	v_lshlrev_b64 v[11:12], 2, v[11:12]
	v_add3_u32 v14, v14, v19, v18
	v_add_co_u32_e32 v11, vcc, v17, v11
	v_addc_co_u32_e32 v12, vcc, v8, v12, vcc
	v_add3_u32 v16, v16, v21, v20
	v_mul_lo_u32 v8, v9, s36
	v_mul_lo_u32 v21, v2, s37
	v_mad_u64_u32 v[17:18], s[0:1], v2, s36, 0
	v_mul_lo_u32 v22, v10, s38
	v_mul_lo_u32 v23, v3, s39
	v_mad_u64_u32 v[19:20], s[0:1], v3, s38, 0
	v_add3_u32 v18, v18, v21, v8
	v_mul_lo_u32 v8, v1, s2
	v_add3_u32 v20, v20, v23, v22
	v_mul_lo_u32 v23, v0, s3
	v_mad_u64_u32 v[21:22], s[0:1], v0, s2, 0
	v_lshlrev_b64 v[19:20], 2, v[19:20]
	v_lshlrev_b64 v[17:18], 2, v[17:18]
	v_add3_u32 v22, v22, v23, v8
	v_lshlrev_b64 v[21:22], 2, v[21:22]
	v_mov_b32_e32 v8, s11
	v_add_co_u32_e32 v21, vcc, s10, v21
	v_addc_co_u32_e32 v8, vcc, v8, v22, vcc
	v_add_co_u32_e32 v19, vcc, v21, v19
	v_addc_co_u32_e32 v8, vcc, v8, v20, vcc
	v_add_co_u32_e32 v17, vcc, v19, v17
	v_lshlrev_b64 v[15:16], 2, v[15:16]
	v_addc_co_u32_e32 v8, vcc, v8, v18, vcc
	v_add_co_u32_e32 v15, vcc, v17, v15
	v_lshlrev_b64 v[13:14], 2, v[13:14]
	v_addc_co_u32_e32 v8, vcc, v8, v16, vcc
	v_add_co_u32_e32 v13, vcc, v15, v13
	v_addc_co_u32_e32 v14, vcc, v8, v14, vcc
	global_load_dword v8, v[11:12], off
	global_load_dword v21, v[13:14], off
	s_load_dwordx8 s[16:23], s[4:5], 0xc8
	s_waitcnt lgkmcnt(0)
	v_mul_lo_u32 v15, v5, s16
	v_mul_lo_u32 v16, v4, s17
	v_mad_u64_u32 v[11:12], s[0:1], v4, s16, 0
	v_mul_lo_u32 v17, v7, s18
	v_mul_lo_u32 v18, v6, s19
	v_mad_u64_u32 v[13:14], s[0:1], v6, s18, 0
	v_add3_u32 v12, v12, v16, v15
	v_mad_u64_u32 v[15:16], s[0:1], v2, s20, 0
	v_add3_u32 v14, v14, v18, v17
	v_mad_u64_u32 v[17:18], s[0:1], v3, s22, 0
	s_load_dwordx2 s[0:1], s[4:5], 0xe8
	v_mul_lo_u32 v19, v9, s20
	v_mul_lo_u32 v20, v2, s21
	;; [unrolled: 1-line block ×4, first 2 shown]
	v_lshlrev_b64 v[13:14], 2, v[13:14]
	v_add3_u32 v16, v16, v20, v19
	v_lshlrev_b64 v[15:16], 2, v[15:16]
	v_add3_u32 v18, v18, v23, v22
	s_waitcnt lgkmcnt(0)
	v_mul_lo_u32 v22, v1, s0
	v_mul_lo_u32 v23, v0, s1
	v_mad_u64_u32 v[19:20], s[0:1], v0, s0, 0
	v_lshlrev_b64 v[17:18], 2, v[17:18]
	v_lshlrev_b64 v[11:12], 2, v[11:12]
	v_add3_u32 v20, v20, v23, v22
	v_lshlrev_b64 v[19:20], 2, v[19:20]
	v_mov_b32_e32 v22, s13
	v_add_co_u32_e32 v19, vcc, s12, v19
	v_addc_co_u32_e32 v20, vcc, v22, v20, vcc
	v_add_co_u32_e32 v17, vcc, v19, v17
	v_addc_co_u32_e32 v18, vcc, v20, v18, vcc
	;; [unrolled: 2-line block ×5, first 2 shown]
	global_load_dword v11, v[11:12], off
	s_mov_b32 s0, 0x3fb8aa3b
	s_load_dwordx8 s[16:23], s[4:5], 0x118
	s_waitcnt lgkmcnt(0)
	v_mul_lo_u32 v10, v10, s22
	s_waitcnt vmcnt(1)
	v_mul_f32_e32 v8, v8, v21
	v_mul_f32_e32 v12, 0x3fb8aa3b, v8
	v_fma_f32 v13, v8, s0, -v12
	v_rndne_f32_e32 v14, v12
	v_fmac_f32_e32 v13, 0x32a5705f, v8
	v_sub_f32_e32 v12, v12, v14
	v_add_f32_e32 v12, v12, v13
	v_exp_f32_e32 v12, v12
	v_cvt_i32_f32_e32 v13, v14
	s_mov_b32 s0, 0xc2ce8ed0
	v_cmp_ngt_f32_e32 vcc, s0, v8
	s_mov_b32 s0, 0x42b17218
	v_ldexp_f32 v12, v12, v13
	v_cndmask_b32_e32 v12, 0, v12, vcc
	v_mov_b32_e32 v13, 0x7f800000
	v_cmp_nlt_f32_e32 vcc, s0, v8
	v_cndmask_b32_e32 v8, v13, v12, vcc
	v_add_f32_e32 v8, 1.0, v8
	v_div_scale_f32 v12, s[0:1], v8, v8, -v21
	v_div_scale_f32 v13, vcc, -v21, v8, -v21
	v_rcp_f32_e32 v14, v12
	v_fma_f32 v15, -v12, v14, 1.0
	v_fmac_f32_e32 v14, v15, v14
	v_mul_f32_e32 v15, v13, v14
	v_fma_f32 v16, -v12, v15, v13
	v_fmac_f32_e32 v15, v16, v14
	v_fma_f32 v12, -v12, v15, v13
	v_div_fmas_f32 v12, v12, v14, v15
	v_mul_lo_u32 v13, v5, s16
	v_mul_lo_u32 v14, v4, s17
	v_mad_u64_u32 v[4:5], s[0:1], v4, s16, 0
	s_load_dwordx2 s[0:1], s[4:5], 0x138
	v_mul_lo_u32 v15, v2, s21
	v_add3_u32 v5, v5, v14, v13
	v_mul_lo_u32 v13, v6, s19
	v_mul_lo_u32 v14, v9, s20
	s_waitcnt lgkmcnt(0)
	v_mul_lo_u32 v17, v1, s0
	v_mul_lo_u32 v18, v0, s1
	v_mad_u64_u32 v[0:1], s[0:1], v0, s0, 0
	v_mul_lo_u32 v16, v3, s23
	v_div_fixup_f32 v8, v12, v8, -v21
	s_waitcnt vmcnt(0)
	v_mul_f32_e32 v11, v11, v8
	v_mul_lo_u32 v12, v7, s18
	v_mad_u64_u32 v[6:7], s[2:3], v6, s18, 0
	v_mad_u64_u32 v[8:9], s[2:3], v2, s20, 0
	;; [unrolled: 1-line block ×3, first 2 shown]
	v_add3_u32 v1, v1, v18, v17
	v_lshlrev_b64 v[0:1], 2, v[0:1]
	v_add3_u32 v7, v7, v13, v12
	v_add3_u32 v3, v3, v16, v10
	v_mov_b32_e32 v10, s15
	v_add_co_u32_e32 v12, vcc, s14, v0
	v_addc_co_u32_e32 v10, vcc, v10, v1, vcc
	v_lshlrev_b64 v[0:1], 2, v[2:3]
	v_add3_u32 v9, v9, v15, v14
	v_add_co_u32_e32 v2, vcc, v12, v0
	v_addc_co_u32_e32 v3, vcc, v10, v1, vcc
	v_lshlrev_b64 v[0:1], 2, v[8:9]
	v_add_co_u32_e32 v2, vcc, v2, v0
	v_addc_co_u32_e32 v3, vcc, v3, v1, vcc
	v_lshlrev_b64 v[0:1], 2, v[6:7]
	;; [unrolled: 3-line block ×3, first 2 shown]
	v_add_co_u32_e32 v0, vcc, v2, v0
	v_addc_co_u32_e32 v1, vcc, v3, v1, vcc
	global_store_dword v[0:1], v11, off
	s_endpgm
	.section	.rodata,"a",@progbits
	.p2align	6, 0x0
	.amdhsa_kernel SoftMarginLossBackward5d
		.amdhsa_group_segment_fixed_size 0
		.amdhsa_private_segment_fixed_size 0
		.amdhsa_kernarg_size 616
		.amdhsa_user_sgpr_count 6
		.amdhsa_user_sgpr_private_segment_buffer 1
		.amdhsa_user_sgpr_dispatch_ptr 0
		.amdhsa_user_sgpr_queue_ptr 0
		.amdhsa_user_sgpr_kernarg_segment_ptr 1
		.amdhsa_user_sgpr_dispatch_id 0
		.amdhsa_user_sgpr_flat_scratch_init 0
		.amdhsa_user_sgpr_private_segment_size 0
		.amdhsa_uses_dynamic_stack 0
		.amdhsa_system_sgpr_private_segment_wavefront_offset 0
		.amdhsa_system_sgpr_workgroup_id_x 1
		.amdhsa_system_sgpr_workgroup_id_y 0
		.amdhsa_system_sgpr_workgroup_id_z 0
		.amdhsa_system_sgpr_workgroup_info 0
		.amdhsa_system_vgpr_workitem_id 0
		.amdhsa_next_free_vgpr 24
		.amdhsa_next_free_sgpr 45
		.amdhsa_reserve_vcc 1
		.amdhsa_reserve_flat_scratch 0
		.amdhsa_float_round_mode_32 0
		.amdhsa_float_round_mode_16_64 0
		.amdhsa_float_denorm_mode_32 3
		.amdhsa_float_denorm_mode_16_64 3
		.amdhsa_dx10_clamp 1
		.amdhsa_ieee_mode 1
		.amdhsa_fp16_overflow 0
		.amdhsa_exception_fp_ieee_invalid_op 0
		.amdhsa_exception_fp_denorm_src 0
		.amdhsa_exception_fp_ieee_div_zero 0
		.amdhsa_exception_fp_ieee_overflow 0
		.amdhsa_exception_fp_ieee_underflow 0
		.amdhsa_exception_fp_ieee_inexact 0
		.amdhsa_exception_int_div_zero 0
	.end_amdhsa_kernel
	.text
.Lfunc_end1:
	.size	SoftMarginLossBackward5d, .Lfunc_end1-SoftMarginLossBackward5d
                                        ; -- End function
	.set SoftMarginLossBackward5d.num_vgpr, 24
	.set SoftMarginLossBackward5d.num_agpr, 0
	.set SoftMarginLossBackward5d.numbered_sgpr, 45
	.set SoftMarginLossBackward5d.num_named_barrier, 0
	.set SoftMarginLossBackward5d.private_seg_size, 0
	.set SoftMarginLossBackward5d.uses_vcc, 1
	.set SoftMarginLossBackward5d.uses_flat_scratch, 0
	.set SoftMarginLossBackward5d.has_dyn_sized_stack, 0
	.set SoftMarginLossBackward5d.has_recursion, 0
	.set SoftMarginLossBackward5d.has_indirect_call, 0
	.section	.AMDGPU.csdata,"",@progbits
; Kernel info:
; codeLenInByte = 4236
; TotalNumSgprs: 49
; NumVgprs: 24
; ScratchSize: 0
; MemoryBound: 0
; FloatMode: 240
; IeeeMode: 1
; LDSByteSize: 0 bytes/workgroup (compile time only)
; SGPRBlocks: 6
; VGPRBlocks: 5
; NumSGPRsForWavesPerEU: 49
; NumVGPRsForWavesPerEU: 24
; Occupancy: 10
; WaveLimiterHint : 1
; COMPUTE_PGM_RSRC2:SCRATCH_EN: 0
; COMPUTE_PGM_RSRC2:USER_SGPR: 6
; COMPUTE_PGM_RSRC2:TRAP_HANDLER: 0
; COMPUTE_PGM_RSRC2:TGID_X_EN: 1
; COMPUTE_PGM_RSRC2:TGID_Y_EN: 0
; COMPUTE_PGM_RSRC2:TGID_Z_EN: 0
; COMPUTE_PGM_RSRC2:TIDIG_COMP_CNT: 0
	.section	.AMDGPU.gpr_maximums,"",@progbits
	.set amdgpu.max_num_vgpr, 0
	.set amdgpu.max_num_agpr, 0
	.set amdgpu.max_num_sgpr, 0
	.section	.AMDGPU.csdata,"",@progbits
	.type	__hip_cuid_842aa23db234c6cd,@object ; @__hip_cuid_842aa23db234c6cd
	.section	.bss,"aw",@nobits
	.globl	__hip_cuid_842aa23db234c6cd
__hip_cuid_842aa23db234c6cd:
	.byte	0                               ; 0x0
	.size	__hip_cuid_842aa23db234c6cd, 1

	.ident	"AMD clang version 22.0.0git (https://github.com/RadeonOpenCompute/llvm-project roc-7.2.4 26084 f58b06dce1f9c15707c5f808fd002e18c2accf7e)"
	.section	".note.GNU-stack","",@progbits
	.addrsig
	.addrsig_sym __hip_cuid_842aa23db234c6cd
	.amdgpu_metadata
---
amdhsa.kernels:
  - .args:
      - .actual_access:  read_only
        .address_space:  global
        .offset:         0
        .size:           8
        .value_kind:     global_buffer
      - .actual_access:  read_only
        .address_space:  global
        .offset:         8
        .size:           8
        .value_kind:     global_buffer
      - .actual_access:  write_only
        .address_space:  global
        .offset:         16
        .size:           8
        .value_kind:     global_buffer
      - .offset:         24
        .size:           8
        .value_kind:     by_value
      - .offset:         32
        .size:           80
        .value_kind:     by_value
      - .offset:         112
        .size:           80
        .value_kind:     by_value
      - .offset:         192
        .size:           80
        .value_kind:     by_value
      - .offset:         272
        .size:           4
        .value_kind:     hidden_block_count_x
      - .offset:         276
        .size:           4
        .value_kind:     hidden_block_count_y
      - .offset:         280
        .size:           4
        .value_kind:     hidden_block_count_z
      - .offset:         284
        .size:           2
        .value_kind:     hidden_group_size_x
      - .offset:         286
        .size:           2
        .value_kind:     hidden_group_size_y
      - .offset:         288
        .size:           2
        .value_kind:     hidden_group_size_z
      - .offset:         290
        .size:           2
        .value_kind:     hidden_remainder_x
      - .offset:         292
        .size:           2
        .value_kind:     hidden_remainder_y
      - .offset:         294
        .size:           2
        .value_kind:     hidden_remainder_z
      - .offset:         312
        .size:           8
        .value_kind:     hidden_global_offset_x
      - .offset:         320
        .size:           8
        .value_kind:     hidden_global_offset_y
      - .offset:         328
        .size:           8
        .value_kind:     hidden_global_offset_z
      - .offset:         336
        .size:           2
        .value_kind:     hidden_grid_dims
    .group_segment_fixed_size: 0
    .kernarg_segment_align: 8
    .kernarg_segment_size: 528
    .language:       OpenCL C
    .language_version:
      - 2
      - 0
    .max_flat_workgroup_size: 1024
    .name:           SoftMarginLossForward5d
    .private_segment_fixed_size: 0
    .sgpr_count:     49
    .sgpr_spill_count: 0
    .symbol:         SoftMarginLossForward5d.kd
    .uniform_work_group_size: 1
    .uses_dynamic_stack: false
    .vgpr_count:     24
    .vgpr_spill_count: 0
    .wavefront_size: 64
  - .args:
      - .actual_access:  read_only
        .address_space:  global
        .offset:         0
        .size:           8
        .value_kind:     global_buffer
      - .actual_access:  read_only
        .address_space:  global
        .offset:         8
        .size:           8
        .value_kind:     global_buffer
      - .actual_access:  read_only
        .address_space:  global
        .offset:         16
        .size:           8
        .value_kind:     global_buffer
      - .actual_access:  write_only
        .address_space:  global
        .offset:         24
        .size:           8
        .value_kind:     global_buffer
      - .offset:         32
        .size:           8
        .value_kind:     by_value
      - .offset:         40
        .size:           80
        .value_kind:     by_value
      - .offset:         120
        .size:           80
        .value_kind:     by_value
      - .offset:         200
        .size:           80
        .value_kind:     by_value
      - .offset:         280
        .size:           80
        .value_kind:     by_value
      - .offset:         360
        .size:           4
        .value_kind:     hidden_block_count_x
      - .offset:         364
        .size:           4
        .value_kind:     hidden_block_count_y
      - .offset:         368
        .size:           4
        .value_kind:     hidden_block_count_z
      - .offset:         372
        .size:           2
        .value_kind:     hidden_group_size_x
      - .offset:         374
        .size:           2
        .value_kind:     hidden_group_size_y
      - .offset:         376
        .size:           2
        .value_kind:     hidden_group_size_z
      - .offset:         378
        .size:           2
        .value_kind:     hidden_remainder_x
      - .offset:         380
        .size:           2
        .value_kind:     hidden_remainder_y
      - .offset:         382
        .size:           2
        .value_kind:     hidden_remainder_z
      - .offset:         400
        .size:           8
        .value_kind:     hidden_global_offset_x
      - .offset:         408
        .size:           8
        .value_kind:     hidden_global_offset_y
      - .offset:         416
        .size:           8
        .value_kind:     hidden_global_offset_z
      - .offset:         424
        .size:           2
        .value_kind:     hidden_grid_dims
    .group_segment_fixed_size: 0
    .kernarg_segment_align: 8
    .kernarg_segment_size: 616
    .language:       OpenCL C
    .language_version:
      - 2
      - 0
    .max_flat_workgroup_size: 1024
    .name:           SoftMarginLossBackward5d
    .private_segment_fixed_size: 0
    .sgpr_count:     49
    .sgpr_spill_count: 0
    .symbol:         SoftMarginLossBackward5d.kd
    .uniform_work_group_size: 1
    .uses_dynamic_stack: false
    .vgpr_count:     24
    .vgpr_spill_count: 0
    .wavefront_size: 64
amdhsa.target:   amdgcn-amd-amdhsa--gfx906
amdhsa.version:
  - 1
  - 2
...

	.end_amdgpu_metadata
